;; amdgpu-corpus repo=ROCm/rocFFT kind=compiled arch=gfx906 opt=O3
	.text
	.amdgcn_target "amdgcn-amd-amdhsa--gfx906"
	.amdhsa_code_object_version 6
	.protected	fft_rtc_fwd_len3240_factors_3_3_10_6_6_wgs_108_tpt_108_halfLds_sp_ip_CI_unitstride_sbrr_C2R_dirReg ; -- Begin function fft_rtc_fwd_len3240_factors_3_3_10_6_6_wgs_108_tpt_108_halfLds_sp_ip_CI_unitstride_sbrr_C2R_dirReg
	.globl	fft_rtc_fwd_len3240_factors_3_3_10_6_6_wgs_108_tpt_108_halfLds_sp_ip_CI_unitstride_sbrr_C2R_dirReg
	.p2align	8
	.type	fft_rtc_fwd_len3240_factors_3_3_10_6_6_wgs_108_tpt_108_halfLds_sp_ip_CI_unitstride_sbrr_C2R_dirReg,@function
fft_rtc_fwd_len3240_factors_3_3_10_6_6_wgs_108_tpt_108_halfLds_sp_ip_CI_unitstride_sbrr_C2R_dirReg: ; @fft_rtc_fwd_len3240_factors_3_3_10_6_6_wgs_108_tpt_108_halfLds_sp_ip_CI_unitstride_sbrr_C2R_dirReg
; %bb.0:
	s_load_dwordx2 s[2:3], s[4:5], 0x50
	s_load_dwordx4 s[8:11], s[4:5], 0x0
	s_load_dwordx2 s[12:13], s[4:5], 0x18
	v_mul_u32_u24_e32 v1, 0x25f, v0
	v_add_u32_sdwa v5, s6, v1 dst_sel:DWORD dst_unused:UNUSED_PAD src0_sel:DWORD src1_sel:WORD_1
	v_mov_b32_e32 v3, 0
	s_waitcnt lgkmcnt(0)
	v_cmp_lt_u64_e64 s[0:1], s[10:11], 2
	v_mov_b32_e32 v1, 0
	v_mov_b32_e32 v6, v3
	s_and_b64 vcc, exec, s[0:1]
	v_mov_b32_e32 v2, 0
	s_cbranch_vccnz .LBB0_8
; %bb.1:
	s_load_dwordx2 s[0:1], s[4:5], 0x10
	s_add_u32 s6, s12, 8
	s_addc_u32 s7, s13, 0
	v_mov_b32_e32 v1, 0
	v_mov_b32_e32 v2, 0
	s_waitcnt lgkmcnt(0)
	s_add_u32 s14, s0, 8
	s_addc_u32 s15, s1, 0
	s_mov_b64 s[16:17], 1
.LBB0_2:                                ; =>This Inner Loop Header: Depth=1
	s_load_dwordx2 s[18:19], s[14:15], 0x0
                                        ; implicit-def: $vgpr7_vgpr8
	s_waitcnt lgkmcnt(0)
	v_or_b32_e32 v4, s19, v6
	v_cmp_ne_u64_e32 vcc, 0, v[3:4]
	s_and_saveexec_b64 s[0:1], vcc
	s_xor_b64 s[20:21], exec, s[0:1]
	s_cbranch_execz .LBB0_4
; %bb.3:                                ;   in Loop: Header=BB0_2 Depth=1
	v_cvt_f32_u32_e32 v4, s18
	v_cvt_f32_u32_e32 v7, s19
	s_sub_u32 s0, 0, s18
	s_subb_u32 s1, 0, s19
	v_mac_f32_e32 v4, 0x4f800000, v7
	v_rcp_f32_e32 v4, v4
	v_mul_f32_e32 v4, 0x5f7ffffc, v4
	v_mul_f32_e32 v7, 0x2f800000, v4
	v_trunc_f32_e32 v7, v7
	v_mac_f32_e32 v4, 0xcf800000, v7
	v_cvt_u32_f32_e32 v7, v7
	v_cvt_u32_f32_e32 v4, v4
	v_mul_lo_u32 v8, s0, v7
	v_mul_hi_u32 v9, s0, v4
	v_mul_lo_u32 v11, s1, v4
	v_mul_lo_u32 v10, s0, v4
	v_add_u32_e32 v8, v9, v8
	v_add_u32_e32 v8, v8, v11
	v_mul_hi_u32 v9, v4, v10
	v_mul_lo_u32 v11, v4, v8
	v_mul_hi_u32 v13, v4, v8
	v_mul_hi_u32 v12, v7, v10
	v_mul_lo_u32 v10, v7, v10
	v_mul_hi_u32 v14, v7, v8
	v_add_co_u32_e32 v9, vcc, v9, v11
	v_addc_co_u32_e32 v11, vcc, 0, v13, vcc
	v_mul_lo_u32 v8, v7, v8
	v_add_co_u32_e32 v9, vcc, v9, v10
	v_addc_co_u32_e32 v9, vcc, v11, v12, vcc
	v_addc_co_u32_e32 v10, vcc, 0, v14, vcc
	v_add_co_u32_e32 v8, vcc, v9, v8
	v_addc_co_u32_e32 v9, vcc, 0, v10, vcc
	v_add_co_u32_e32 v4, vcc, v4, v8
	v_addc_co_u32_e32 v7, vcc, v7, v9, vcc
	v_mul_lo_u32 v8, s0, v7
	v_mul_hi_u32 v9, s0, v4
	v_mul_lo_u32 v10, s1, v4
	v_mul_lo_u32 v11, s0, v4
	v_add_u32_e32 v8, v9, v8
	v_add_u32_e32 v8, v8, v10
	v_mul_lo_u32 v12, v4, v8
	v_mul_hi_u32 v13, v4, v11
	v_mul_hi_u32 v14, v4, v8
	;; [unrolled: 1-line block ×3, first 2 shown]
	v_mul_lo_u32 v11, v7, v11
	v_mul_hi_u32 v9, v7, v8
	v_add_co_u32_e32 v12, vcc, v13, v12
	v_addc_co_u32_e32 v13, vcc, 0, v14, vcc
	v_mul_lo_u32 v8, v7, v8
	v_add_co_u32_e32 v11, vcc, v12, v11
	v_addc_co_u32_e32 v10, vcc, v13, v10, vcc
	v_addc_co_u32_e32 v9, vcc, 0, v9, vcc
	v_add_co_u32_e32 v8, vcc, v10, v8
	v_addc_co_u32_e32 v9, vcc, 0, v9, vcc
	v_add_co_u32_e32 v4, vcc, v4, v8
	v_addc_co_u32_e32 v9, vcc, v7, v9, vcc
	v_mad_u64_u32 v[7:8], s[0:1], v5, v9, 0
	v_mul_hi_u32 v10, v5, v4
	v_add_co_u32_e32 v11, vcc, v10, v7
	v_addc_co_u32_e32 v12, vcc, 0, v8, vcc
	v_mad_u64_u32 v[7:8], s[0:1], v6, v4, 0
	v_mad_u64_u32 v[9:10], s[0:1], v6, v9, 0
	v_add_co_u32_e32 v4, vcc, v11, v7
	v_addc_co_u32_e32 v4, vcc, v12, v8, vcc
	v_addc_co_u32_e32 v7, vcc, 0, v10, vcc
	v_add_co_u32_e32 v4, vcc, v4, v9
	v_addc_co_u32_e32 v9, vcc, 0, v7, vcc
	v_mul_lo_u32 v10, s19, v4
	v_mul_lo_u32 v11, s18, v9
	v_mad_u64_u32 v[7:8], s[0:1], s18, v4, 0
	v_add3_u32 v8, v8, v11, v10
	v_sub_u32_e32 v10, v6, v8
	v_mov_b32_e32 v11, s19
	v_sub_co_u32_e32 v7, vcc, v5, v7
	v_subb_co_u32_e64 v10, s[0:1], v10, v11, vcc
	v_subrev_co_u32_e64 v11, s[0:1], s18, v7
	v_subbrev_co_u32_e64 v10, s[0:1], 0, v10, s[0:1]
	v_cmp_le_u32_e64 s[0:1], s19, v10
	v_cndmask_b32_e64 v12, 0, -1, s[0:1]
	v_cmp_le_u32_e64 s[0:1], s18, v11
	v_cndmask_b32_e64 v11, 0, -1, s[0:1]
	v_cmp_eq_u32_e64 s[0:1], s19, v10
	v_cndmask_b32_e64 v10, v12, v11, s[0:1]
	v_add_co_u32_e64 v11, s[0:1], 2, v4
	v_addc_co_u32_e64 v12, s[0:1], 0, v9, s[0:1]
	v_add_co_u32_e64 v13, s[0:1], 1, v4
	v_addc_co_u32_e64 v14, s[0:1], 0, v9, s[0:1]
	v_subb_co_u32_e32 v8, vcc, v6, v8, vcc
	v_cmp_ne_u32_e64 s[0:1], 0, v10
	v_cmp_le_u32_e32 vcc, s19, v8
	v_cndmask_b32_e64 v10, v14, v12, s[0:1]
	v_cndmask_b32_e64 v12, 0, -1, vcc
	v_cmp_le_u32_e32 vcc, s18, v7
	v_cndmask_b32_e64 v7, 0, -1, vcc
	v_cmp_eq_u32_e32 vcc, s19, v8
	v_cndmask_b32_e32 v7, v12, v7, vcc
	v_cmp_ne_u32_e32 vcc, 0, v7
	v_cndmask_b32_e64 v7, v13, v11, s[0:1]
	v_cndmask_b32_e32 v8, v9, v10, vcc
	v_cndmask_b32_e32 v7, v4, v7, vcc
.LBB0_4:                                ;   in Loop: Header=BB0_2 Depth=1
	s_andn2_saveexec_b64 s[0:1], s[20:21]
	s_cbranch_execz .LBB0_6
; %bb.5:                                ;   in Loop: Header=BB0_2 Depth=1
	v_cvt_f32_u32_e32 v4, s18
	s_sub_i32 s20, 0, s18
	v_rcp_iflag_f32_e32 v4, v4
	v_mul_f32_e32 v4, 0x4f7ffffe, v4
	v_cvt_u32_f32_e32 v4, v4
	v_mul_lo_u32 v7, s20, v4
	v_mul_hi_u32 v7, v4, v7
	v_add_u32_e32 v4, v4, v7
	v_mul_hi_u32 v4, v5, v4
	v_mul_lo_u32 v7, v4, s18
	v_add_u32_e32 v8, 1, v4
	v_sub_u32_e32 v7, v5, v7
	v_subrev_u32_e32 v9, s18, v7
	v_cmp_le_u32_e32 vcc, s18, v7
	v_cndmask_b32_e32 v7, v7, v9, vcc
	v_cndmask_b32_e32 v4, v4, v8, vcc
	v_add_u32_e32 v8, 1, v4
	v_cmp_le_u32_e32 vcc, s18, v7
	v_cndmask_b32_e32 v7, v4, v8, vcc
	v_mov_b32_e32 v8, v3
.LBB0_6:                                ;   in Loop: Header=BB0_2 Depth=1
	s_or_b64 exec, exec, s[0:1]
	v_mul_lo_u32 v4, v8, s18
	v_mul_lo_u32 v11, v7, s19
	v_mad_u64_u32 v[9:10], s[0:1], v7, s18, 0
	s_load_dwordx2 s[0:1], s[6:7], 0x0
	s_add_u32 s16, s16, 1
	v_add3_u32 v4, v10, v11, v4
	v_sub_co_u32_e32 v5, vcc, v5, v9
	v_subb_co_u32_e32 v4, vcc, v6, v4, vcc
	s_waitcnt lgkmcnt(0)
	v_mul_lo_u32 v4, s0, v4
	v_mul_lo_u32 v6, s1, v5
	v_mad_u64_u32 v[1:2], s[0:1], s0, v5, v[1:2]
	s_addc_u32 s17, s17, 0
	s_add_u32 s6, s6, 8
	v_add3_u32 v2, v6, v2, v4
	v_mov_b32_e32 v4, s10
	v_mov_b32_e32 v5, s11
	s_addc_u32 s7, s7, 0
	v_cmp_ge_u64_e32 vcc, s[16:17], v[4:5]
	s_add_u32 s14, s14, 8
	s_addc_u32 s15, s15, 0
	s_cbranch_vccnz .LBB0_9
; %bb.7:                                ;   in Loop: Header=BB0_2 Depth=1
	v_mov_b32_e32 v5, v7
	v_mov_b32_e32 v6, v8
	s_branch .LBB0_2
.LBB0_8:
	v_mov_b32_e32 v8, v6
	v_mov_b32_e32 v7, v5
.LBB0_9:
	s_lshl_b64 s[0:1], s[10:11], 3
	s_add_u32 s0, s12, s0
	s_addc_u32 s1, s13, s1
	s_load_dwordx2 s[6:7], s[0:1], 0x0
	s_load_dwordx2 s[10:11], s[4:5], 0x20
	s_waitcnt lgkmcnt(0)
	v_mad_u64_u32 v[1:2], s[0:1], s6, v7, v[1:2]
	v_mul_lo_u32 v3, s6, v8
	v_mul_lo_u32 v4, s7, v7
	s_mov_b32 s0, 0x25ed098
	v_mul_hi_u32 v5, v0, s0
	v_cmp_gt_u64_e64 s[0:1], s[10:11], v[7:8]
	v_add3_u32 v2, v4, v2, v3
	v_lshlrev_b64 v[6:7], 3, v[1:2]
	v_mul_u32_u24_e32 v3, 0x6c, v5
	v_sub_u32_e32 v4, v0, v3
	s_and_saveexec_b64 s[4:5], s[0:1]
	s_cbranch_execz .LBB0_13
; %bb.10:
	v_mov_b32_e32 v5, 0
	v_mov_b32_e32 v0, s3
	v_add_co_u32_e32 v1, vcc, s2, v6
	v_lshlrev_b64 v[2:3], 3, v[4:5]
	v_addc_co_u32_e32 v0, vcc, v0, v7, vcc
	v_add_co_u32_e32 v2, vcc, v1, v2
	v_addc_co_u32_e32 v3, vcc, v0, v3, vcc
	s_movk_i32 s6, 0x1000
	v_add_co_u32_e32 v10, vcc, s6, v2
	v_addc_co_u32_e32 v11, vcc, 0, v3, vcc
	s_movk_i32 s6, 0x2000
	;; [unrolled: 3-line block ×3, first 2 shown]
	global_load_dwordx2 v[8:9], v[2:3], off offset:2592
	global_load_dwordx2 v[12:13], v[2:3], off offset:3456
	;; [unrolled: 1-line block ×9, first 2 shown]
	v_add_co_u32_e32 v10, vcc, s6, v2
	v_addc_co_u32_e32 v11, vcc, 0, v3, vcc
	s_movk_i32 s6, 0x4000
	global_load_dwordx2 v[30:31], v[20:21], off offset:2176
	global_load_dwordx2 v[32:33], v[20:21], off offset:3040
	global_load_dwordx2 v[34:35], v[20:21], off offset:3904
	global_load_dwordx2 v[36:37], v[10:11], off offset:672
	global_load_dwordx2 v[38:39], v[2:3], off
	global_load_dwordx2 v[40:41], v[2:3], off offset:1728
	global_load_dwordx2 v[42:43], v[2:3], off offset:864
	v_add_co_u32_e32 v20, vcc, s6, v2
	v_addc_co_u32_e32 v21, vcc, 0, v3, vcc
	global_load_dwordx2 v[44:45], v[10:11], off offset:1536
	global_load_dwordx2 v[46:47], v[10:11], off offset:2400
	;; [unrolled: 1-line block ×4, first 2 shown]
	s_movk_i32 s6, 0x5000
	v_add_co_u32_e32 v10, vcc, s6, v2
	v_addc_co_u32_e32 v11, vcc, 0, v3, vcc
	v_add_co_u32_e32 v2, vcc, 0x6000, v2
	v_addc_co_u32_e32 v3, vcc, 0, v3, vcc
	global_load_dwordx2 v[52:53], v[20:21], off offset:896
	global_load_dwordx2 v[54:55], v[20:21], off offset:1760
	;; [unrolled: 1-line block ×10, first 2 shown]
	v_lshl_add_u32 v2, v4, 3, 0
	v_add_u32_e32 v3, 0x400, v2
	v_add_u32_e32 v10, 0xc00, v2
	;; [unrolled: 1-line block ×7, first 2 shown]
	s_movk_i32 s6, 0x6b
	v_cmp_eq_u32_e32 vcc, s6, v4
	s_waitcnt vmcnt(15)
	ds_write2_b64 v3, v[40:41], v[8:9] offset0:88 offset1:196
	ds_write2_b64 v10, v[12:13], v[14:15] offset0:48 offset1:156
	;; [unrolled: 1-line block ×7, first 2 shown]
	v_add_u32_e32 v3, 0x3400, v2
	v_add_u32_e32 v8, 0x3c00, v2
	s_waitcnt vmcnt(12)
	ds_write2_b64 v3, v[44:45], v[46:47] offset0:64 offset1:172
	ds_write2_b64 v2, v[38:39], v[42:43] offset1:108
	s_waitcnt vmcnt(10)
	ds_write2_b64 v8, v[48:49], v[50:51] offset0:24 offset1:132
	v_add_u32_e32 v3, 0x4000, v2
	s_waitcnt vmcnt(8)
	ds_write2_b64 v3, v[52:53], v[54:55] offset0:112 offset1:220
	v_add_u32_e32 v3, 0x4800, v2
	;; [unrolled: 3-line block ×4, first 2 shown]
	v_add_u32_e32 v2, 0x5c00, v2
	s_waitcnt vmcnt(2)
	ds_write2_b64 v3, v[64:65], v[66:67] offset0:120 offset1:228
	s_waitcnt vmcnt(0)
	ds_write2_b64 v2, v[68:69], v[70:71] offset0:80 offset1:188
	s_and_saveexec_b64 s[6:7], vcc
	s_cbranch_execz .LBB0_12
; %bb.11:
	v_add_co_u32_e32 v1, vcc, 0x6000, v1
	v_addc_co_u32_e32 v2, vcc, 0, v0, vcc
	global_load_dwordx2 v[0:1], v[1:2], off offset:1344
	v_mov_b32_e32 v4, 0x6b
	s_waitcnt vmcnt(0)
	ds_write_b64 v5, v[0:1] offset:25920
.LBB0_12:
	s_or_b64 exec, exec, s[6:7]
.LBB0_13:
	s_or_b64 exec, exec, s[4:5]
	v_lshlrev_b32_e32 v0, 3, v4
	v_add_u32_e32 v10, 0, v0
	s_waitcnt lgkmcnt(0)
	s_barrier
	v_sub_u32_e32 v8, 0, v0
	ds_read_b32 v9, v10
	ds_read_b32 v11, v8 offset:25920
	s_add_u32 s6, s8, 0x6528
	s_addc_u32 s7, s9, 0
	v_cmp_ne_u32_e32 vcc, 0, v4
                                        ; implicit-def: $vgpr2_vgpr3
	s_waitcnt lgkmcnt(0)
	v_add_f32_e32 v0, v11, v9
	v_sub_f32_e32 v1, v9, v11
	s_and_saveexec_b64 s[4:5], vcc
	s_xor_b64 s[4:5], exec, s[4:5]
	s_cbranch_execz .LBB0_15
; %bb.14:
	v_mov_b32_e32 v5, 0
	v_lshlrev_b64 v[0:1], 3, v[4:5]
	v_mov_b32_e32 v2, s7
	v_add_co_u32_e32 v0, vcc, s6, v0
	v_addc_co_u32_e32 v1, vcc, v2, v1, vcc
	global_load_dwordx2 v[2:3], v[0:1], off
	ds_read_b32 v0, v8 offset:25924
	ds_read_b32 v1, v10 offset:4
	v_add_f32_e32 v12, v11, v9
	v_sub_f32_e32 v9, v9, v11
	s_waitcnt lgkmcnt(0)
	v_add_f32_e32 v13, v0, v1
	v_sub_f32_e32 v0, v1, v0
	s_waitcnt vmcnt(0)
	v_fma_f32 v14, v9, v3, v12
	v_fma_f32 v1, v13, v3, v0
	v_fma_f32 v11, -v9, v3, v12
	v_fma_f32 v12, v13, v3, -v0
	v_fma_f32 v0, -v2, v13, v14
	v_fmac_f32_e32 v1, v9, v2
	v_fmac_f32_e32 v11, v2, v13
	;; [unrolled: 1-line block ×3, first 2 shown]
	v_mov_b32_e32 v2, v4
	ds_write_b64 v8, v[11:12] offset:25920
	v_mov_b32_e32 v3, v5
.LBB0_15:
	s_andn2_saveexec_b64 s[4:5], s[4:5]
	s_cbranch_execz .LBB0_17
; %bb.16:
	v_mov_b32_e32 v5, 0
	ds_read_b64 v[2:3], v5 offset:12960
	s_waitcnt lgkmcnt(0)
	v_add_f32_e32 v11, v2, v2
	v_mul_f32_e32 v12, -2.0, v3
	v_mov_b32_e32 v2, 0
	v_mov_b32_e32 v3, 0
	ds_write_b64 v5, v[11:12] offset:12960
.LBB0_17:
	s_or_b64 exec, exec, s[4:5]
	v_lshlrev_b64 v[2:3], 3, v[2:3]
	v_mov_b32_e32 v5, s7
	v_add_co_u32_e32 v2, vcc, s6, v2
	v_addc_co_u32_e32 v3, vcc, v5, v3, vcc
	global_load_dwordx2 v[11:12], v[2:3], off offset:864
	global_load_dwordx2 v[13:14], v[2:3], off offset:1728
	;; [unrolled: 1-line block ×4, first 2 shown]
	s_movk_i32 s4, 0x1000
	v_add_co_u32_e32 v21, vcc, s4, v2
	ds_write_b64 v10, v[0:1]
	v_addc_co_u32_e32 v22, vcc, 0, v3, vcc
	ds_read_b64 v[0:1], v10 offset:864
	ds_read_b64 v[19:20], v8 offset:25056
	global_load_dwordx2 v[23:24], v[21:22], off offset:224
	s_movk_i32 s5, 0x2000
	v_add_co_u32_e32 v2, vcc, s5, v2
	s_waitcnt lgkmcnt(0)
	v_add_f32_e32 v5, v0, v19
	v_add_f32_e32 v9, v20, v1
	v_sub_f32_e32 v25, v0, v19
	v_sub_f32_e32 v0, v1, v20
	v_addc_co_u32_e32 v3, vcc, 0, v3, vcc
	v_mad_u32_u24 v86, v4, 24, 0
	v_add_u32_e32 v87, 0xa20, v86
	s_movk_i32 s6, 0xab
	s_mov_b32 s7, 0x3f737871
	s_mov_b32 s11, 0x3f167918
	;; [unrolled: 1-line block ×3, first 2 shown]
	s_waitcnt vmcnt(4)
	v_fma_f32 v26, v25, v12, v5
	v_fma_f32 v1, v9, v12, v0
	v_fma_f32 v19, -v25, v12, v5
	v_fma_f32 v20, v9, v12, -v0
	v_fma_f32 v0, -v11, v9, v26
	v_fmac_f32_e32 v1, v25, v11
	v_fmac_f32_e32 v19, v11, v9
	v_fmac_f32_e32 v20, v25, v11
	ds_write_b64 v10, v[0:1] offset:864
	ds_write_b64 v8, v[19:20] offset:25056
	ds_read_b64 v[0:1], v10 offset:1728
	ds_read_b64 v[11:12], v8 offset:24192
	global_load_dwordx2 v[19:20], v[21:22], off offset:1088
	s_waitcnt lgkmcnt(0)
	v_add_f32_e32 v5, v0, v11
	v_add_f32_e32 v9, v12, v1
	v_sub_f32_e32 v25, v0, v11
	v_sub_f32_e32 v0, v1, v12
	s_waitcnt vmcnt(4)
	v_fma_f32 v26, v25, v14, v5
	v_fma_f32 v1, v9, v14, v0
	v_fma_f32 v11, -v25, v14, v5
	v_fma_f32 v12, v9, v14, -v0
	v_fma_f32 v0, -v13, v9, v26
	v_fmac_f32_e32 v1, v25, v13
	v_fmac_f32_e32 v11, v13, v9
	v_fmac_f32_e32 v12, v25, v13
	ds_write_b64 v10, v[0:1] offset:1728
	ds_write_b64 v8, v[11:12] offset:24192
	ds_read_b64 v[0:1], v10 offset:2592
	ds_read_b64 v[11:12], v8 offset:23328
	global_load_dwordx2 v[13:14], v[21:22], off offset:1952
	s_waitcnt lgkmcnt(0)
	v_add_f32_e32 v5, v0, v11
	v_add_f32_e32 v9, v12, v1
	v_sub_f32_e32 v25, v0, v11
	v_sub_f32_e32 v0, v1, v12
	;; [unrolled: 19-line block ×6, first 2 shown]
	s_waitcnt vmcnt(4)
	v_fma_f32 v24, v23, v14, v5
	v_fma_f32 v1, v9, v14, v0
	v_fma_f32 v11, -v23, v14, v5
	v_fma_f32 v12, v9, v14, -v0
	v_fma_f32 v0, -v13, v9, v24
	v_fmac_f32_e32 v1, v23, v13
	v_fmac_f32_e32 v11, v13, v9
	;; [unrolled: 1-line block ×3, first 2 shown]
	ds_write_b64 v10, v[0:1] offset:6048
	ds_write_b64 v8, v[11:12] offset:19872
	ds_read_b64 v[0:1], v10 offset:6912
	ds_read_b64 v[11:12], v8 offset:19008
	s_waitcnt lgkmcnt(0)
	v_add_f32_e32 v5, v0, v11
	v_add_f32_e32 v9, v12, v1
	v_sub_f32_e32 v13, v0, v11
	v_sub_f32_e32 v14, v1, v12
	global_load_dwordx2 v[11:12], v[2:3], off offset:2176
	s_waitcnt vmcnt(4)
	v_fma_f32 v0, v13, v16, v5
	v_fma_f32 v1, v9, v16, v14
	v_fma_f32 v0, -v15, v9, v0
	v_fmac_f32_e32 v1, v13, v15
	ds_write_b64 v10, v[0:1] offset:6912
	v_fma_f32 v0, -v13, v16, v5
	v_fma_f32 v1, v9, v16, -v14
	v_fmac_f32_e32 v0, v15, v9
	v_fmac_f32_e32 v1, v13, v15
	ds_write_b64 v8, v[0:1] offset:19008
	ds_read_b64 v[0:1], v10 offset:7776
	ds_read_b64 v[13:14], v8 offset:18144
	s_waitcnt lgkmcnt(0)
	v_add_f32_e32 v5, v0, v13
	v_add_f32_e32 v9, v14, v1
	v_sub_f32_e32 v15, v0, v13
	v_sub_f32_e32 v16, v1, v14
	global_load_dwordx2 v[13:14], v[2:3], off offset:3040
	s_waitcnt vmcnt(4)
	v_fma_f32 v0, v15, v18, v5
	v_fma_f32 v1, v9, v18, v16
	v_fma_f32 v0, -v17, v9, v0
	v_fmac_f32_e32 v1, v15, v17
	ds_write_b64 v10, v[0:1] offset:7776
	v_fma_f32 v0, -v15, v18, v5
	v_fma_f32 v1, v9, v18, -v16
	v_fmac_f32_e32 v0, v17, v9
	v_fmac_f32_e32 v1, v15, v17
	ds_write_b64 v8, v[0:1] offset:18144
	ds_read_b64 v[0:1], v10 offset:8640
	ds_read_b64 v[15:16], v8 offset:17280
	v_add_u32_e32 v18, 0x4000, v10
	s_waitcnt lgkmcnt(0)
	v_add_f32_e32 v5, v0, v15
	v_add_f32_e32 v9, v16, v1
	v_sub_f32_e32 v15, v0, v15
	v_sub_f32_e32 v16, v1, v16
	global_load_dwordx2 v[0:1], v[2:3], off offset:3904
	s_waitcnt vmcnt(4)
	v_fma_f32 v17, v15, v22, v5
	v_fma_f32 v3, v9, v22, v16
	v_fma_f32 v2, -v21, v9, v17
	v_fmac_f32_e32 v3, v15, v21
	ds_write_b64 v10, v[2:3] offset:8640
	v_fma_f32 v2, -v15, v22, v5
	v_fma_f32 v3, v9, v22, -v16
	v_fmac_f32_e32 v2, v21, v9
	v_fmac_f32_e32 v3, v15, v21
	ds_write_b64 v8, v[2:3] offset:17280
	ds_read_b64 v[2:3], v10 offset:9504
	ds_read_b64 v[15:16], v8 offset:16416
	s_waitcnt lgkmcnt(0)
	v_add_f32_e32 v5, v2, v15
	v_add_f32_e32 v9, v16, v3
	v_sub_f32_e32 v15, v2, v15
	v_sub_f32_e32 v16, v3, v16
	s_waitcnt vmcnt(3)
	v_fma_f32 v2, v15, v20, v5
	v_fma_f32 v3, v9, v20, v16
	v_fma_f32 v2, -v19, v9, v2
	v_fmac_f32_e32 v3, v15, v19
	ds_write_b64 v10, v[2:3] offset:9504
	v_fma_f32 v2, -v15, v20, v5
	v_fma_f32 v3, v9, v20, -v16
	v_fmac_f32_e32 v2, v19, v9
	v_fmac_f32_e32 v3, v15, v19
	ds_write_b64 v8, v[2:3] offset:16416
	ds_read_b64 v[2:3], v10 offset:10368
	ds_read_b64 v[15:16], v8 offset:15552
	v_add_u32_e32 v20, 0x2000, v10
	v_add_u32_e32 v19, 0x400, v10
	s_waitcnt lgkmcnt(0)
	v_add_f32_e32 v5, v2, v15
	v_add_f32_e32 v9, v16, v3
	v_sub_f32_e32 v15, v2, v15
	v_sub_f32_e32 v16, v3, v16
	s_waitcnt vmcnt(2)
	v_fma_f32 v2, v15, v12, v5
	v_fma_f32 v3, v9, v12, v16
	v_fma_f32 v2, -v11, v9, v2
	v_fmac_f32_e32 v3, v15, v11
	ds_write_b64 v10, v[2:3] offset:10368
	v_fma_f32 v2, -v15, v12, v5
	v_fma_f32 v3, v9, v12, -v16
	v_fmac_f32_e32 v2, v11, v9
	v_fmac_f32_e32 v3, v15, v11
	ds_write_b64 v8, v[2:3] offset:15552
	ds_read_b64 v[2:3], v10 offset:11232
	ds_read_b64 v[11:12], v8 offset:14688
	v_add_u32_e32 v16, 0x2800, v10
	s_waitcnt lgkmcnt(0)
	v_add_f32_e32 v5, v2, v11
	v_add_f32_e32 v9, v12, v3
	v_sub_f32_e32 v11, v2, v11
	v_sub_f32_e32 v12, v3, v12
	s_waitcnt vmcnt(1)
	v_fma_f32 v2, v11, v14, v5
	v_fma_f32 v3, v9, v14, v12
	v_fma_f32 v2, -v13, v9, v2
	v_fmac_f32_e32 v3, v11, v13
	ds_write_b64 v10, v[2:3] offset:11232
	v_fma_f32 v2, -v11, v14, v5
	v_fma_f32 v3, v9, v14, -v12
	v_fmac_f32_e32 v2, v13, v9
	v_fmac_f32_e32 v3, v11, v13
	ds_write_b64 v8, v[2:3] offset:14688
	ds_read_b64 v[2:3], v10 offset:12096
	ds_read_b64 v[11:12], v8 offset:13824
	s_waitcnt lgkmcnt(0)
	v_add_f32_e32 v5, v2, v11
	v_add_f32_e32 v9, v12, v3
	v_sub_f32_e32 v11, v2, v11
	v_sub_f32_e32 v12, v3, v12
	s_waitcnt vmcnt(0)
	v_fma_f32 v2, v11, v1, v5
	v_fma_f32 v3, v9, v1, v12
	v_fma_f32 v2, -v0, v9, v2
	v_fmac_f32_e32 v3, v11, v0
	ds_write_b64 v10, v[2:3] offset:12096
	v_fma_f32 v2, -v11, v1, v5
	v_fma_f32 v3, v9, v1, -v12
	v_fmac_f32_e32 v2, v0, v9
	v_fmac_f32_e32 v3, v11, v0
	ds_write_b64 v8, v[2:3] offset:13824
	s_waitcnt lgkmcnt(0)
	s_barrier
	s_barrier
	ds_read2_b64 v[0:3], v10 offset1:108
	ds_read2_b64 v[11:14], v20 offset0:56 offset1:164
	ds_read2_b64 v[21:24], v18 offset0:112 offset1:220
	;; [unrolled: 1-line block ×3, first 2 shown]
	s_waitcnt lgkmcnt(2)
	v_add_f32_e32 v15, v3, v14
	s_waitcnt lgkmcnt(1)
	v_sub_f32_e32 v77, v14, v24
	v_add_f32_e32 v17, v14, v24
	v_add_u32_e32 v14, 0x4800, v10
	ds_read2_b64 v[29:32], v16 offset0:16 offset1:124
	ds_read2_b64 v[33:36], v14 offset0:72 offset1:180
	v_sub_f32_e32 v74, v12, v22
	v_add_f32_e32 v9, v1, v12
	v_add_f32_e32 v75, v12, v22
	;; [unrolled: 1-line block ×5, first 2 shown]
	v_sub_f32_e32 v76, v11, v21
	v_add_f32_e32 v11, v2, v13
	v_fma_f32 v2, -0.5, v12, v2
	v_fmac_f32_e32 v3, -0.5, v17
	v_sub_f32_e32 v78, v13, v23
	v_add_f32_e32 v66, v15, v24
	s_waitcnt lgkmcnt(0)
	v_add_f32_e32 v24, v29, v33
	v_add_f32_e32 v80, v30, v34
	v_mov_b32_e32 v71, v2
	v_mov_b32_e32 v72, v3
	v_add_f32_e32 v8, v5, v21
	v_add_f32_e32 v65, v11, v23
	;; [unrolled: 1-line block ×6, first 2 shown]
	v_fmac_f32_e32 v71, 0x3f5db3d7, v77
	v_fmac_f32_e32 v72, 0xbf5db3d7, v78
	v_add_u32_e32 v17, 0xc00, v10
	v_fma_f32 v24, -0.5, v24, v25
	v_fma_f32 v25, -0.5, v80, v26
	v_add_f32_e32 v9, v9, v22
	v_sub_f32_e32 v79, v30, v34
	v_sub_f32_e32 v81, v29, v33
	v_add_f32_e32 v82, v31, v35
	v_sub_f32_e32 v83, v32, v36
	v_add_f32_e32 v84, v32, v36
	;; [unrolled: 2-line block ×3, first 2 shown]
	v_add_f32_e32 v68, v11, v34
	v_add_f32_e32 v69, v13, v35
	;; [unrolled: 1-line block ×3, first 2 shown]
	v_add_u32_e32 v12, 0x2c00, v10
	v_add_u32_e32 v5, 0x5000, v10
	;; [unrolled: 1-line block ×8, first 2 shown]
	ds_read2_b64 v[29:32], v17 offset0:48 offset1:156
	ds_read2_b64 v[33:36], v12 offset0:104 offset1:212
	ds_read2_b64 v[37:40], v5 offset0:32 offset1:140
	ds_read2_b64 v[41:44], v23 offset0:136 offset1:244
	ds_read2_b64 v[45:48], v22 offset0:64 offset1:172
	ds_read2_b64 v[49:52], v21 offset0:120 offset1:228
	ds_read2_b64 v[53:56], v15 offset0:96 offset1:204
	ds_read2_b64 v[57:60], v13 offset0:24 offset1:132
	ds_read2_b64 v[61:64], v11 offset0:80 offset1:188
	s_waitcnt lgkmcnt(0)
	s_barrier
	ds_write2_b64 v87, v[65:66], v[71:72] offset1:1
	v_mov_b32_e32 v65, v24
	v_mov_b32_e32 v66, v25
	v_fmac_f32_e32 v65, 0x3f5db3d7, v79
	v_fmac_f32_e32 v66, 0xbf5db3d7, v81
	v_add_u32_e32 v26, 0x1440, v86
	v_fma_f32 v27, -0.5, v82, v27
	v_fmac_f32_e32 v28, -0.5, v84
	ds_write2_b64 v26, v[67:68], v[65:66] offset1:1
	v_mov_b32_e32 v65, v27
	v_mov_b32_e32 v66, v28
	v_fmac_f32_e32 v65, 0x3f5db3d7, v83
	v_fmac_f32_e32 v66, 0xbf5db3d7, v85
	v_add_u32_e32 v26, 0x1e60, v86
	ds_write2_b64 v26, v[69:70], v[65:66] offset1:1
	v_add_f32_e32 v26, v29, v33
	v_add_f32_e32 v65, v26, v37
	;; [unrolled: 1-line block ×5, first 2 shown]
	v_fma_f32 v29, -0.5, v26, v29
	v_add_f32_e32 v26, v34, v38
	v_fma_f32 v30, -0.5, v26, v30
	v_sub_f32_e32 v26, v34, v38
	v_mov_b32_e32 v67, v29
	v_mov_b32_e32 v68, v30
	v_sub_f32_e32 v37, v33, v37
	v_fmac_f32_e32 v67, 0x3f5db3d7, v26
	v_fmac_f32_e32 v68, 0xbf5db3d7, v37
	v_add_u32_e32 v33, 0x2880, v86
	ds_write2_b64 v33, v[65:66], v[67:68] offset1:1
	v_add_f32_e32 v33, v31, v35
	v_add_f32_e32 v34, v32, v36
	;; [unrolled: 1-line block ×3, first 2 shown]
	v_sub_f32_e32 v65, v36, v40
	v_add_f32_e32 v36, v36, v40
	v_sub_f32_e32 v35, v35, v39
	v_add_f32_e32 v39, v33, v39
	v_add_f32_e32 v40, v34, v40
	;; [unrolled: 1-line block ×5, first 2 shown]
	v_sub_f32_e32 v67, v46, v50
	v_add_f32_e32 v46, v46, v50
	v_sub_f32_e32 v45, v45, v49
	v_add_f32_e32 v68, v43, v47
	v_add_f32_e32 v71, v44, v48
	;; [unrolled: 1-line block ×6, first 2 shown]
	v_fma_f32 v0, -0.5, v73, v0
	v_fma_f32 v1, -0.5, v75, v1
	v_fmac_f32_e32 v2, 0xbf5db3d7, v77
	v_fmac_f32_e32 v3, 0x3f5db3d7, v78
	v_add_f32_e32 v69, v47, v51
	v_sub_f32_e32 v70, v48, v52
	v_add_f32_e32 v48, v48, v52
	v_sub_f32_e32 v47, v47, v51
	v_add_f32_e32 v51, v68, v51
	v_add_f32_e32 v52, v71, v52
	;; [unrolled: 1-line block ×3, first 2 shown]
	v_sub_f32_e32 v71, v58, v62
	v_add_f32_e32 v58, v58, v62
	v_sub_f32_e32 v57, v57, v61
	v_add_f32_e32 v61, v33, v61
	v_add_f32_e32 v62, v34, v62
	v_mov_b32_e32 v33, v0
	v_mov_b32_e32 v34, v1
	ds_write_b64 v86, v[2:3] offset:2608
	v_fma_f32 v2, -0.5, v38, v31
	v_fmac_f32_e32 v0, 0xbf5db3d7, v74
	v_fmac_f32_e32 v1, 0x3f5db3d7, v76
	v_fmac_f32_e32 v32, -0.5, v36
	ds_write_b64 v86, v[0:1] offset:16
	v_mov_b32_e32 v0, v2
	v_fmac_f32_e32 v33, 0x3f5db3d7, v74
	v_fmac_f32_e32 v34, 0xbf5db3d7, v76
	;; [unrolled: 1-line block ×4, first 2 shown]
	v_mov_b32_e32 v3, v32
	v_fmac_f32_e32 v32, 0x3f5db3d7, v35
	v_fmac_f32_e32 v24, 0xbf5db3d7, v79
	;; [unrolled: 1-line block ×6, first 2 shown]
	v_add_u32_e32 v1, 0x32a4, v86
	ds_write2_b64 v86, v[8:9], v[33:34] offset1:1
	ds_write_b64 v86, v[27:28] offset:7792
	ds_write_b32 v86, v32 offset:12980
	ds_write_b64 v86, v[24:25] offset:5200
	ds_write_b64 v86, v[29:30] offset:10384
	ds_write_b32 v86, v39 offset:12960
	ds_write2_b32 v1, v40, v0 offset1:1
	v_fmac_f32_e32 v2, 0xbf5db3d7, v65
	v_fmac_f32_e32 v3, 0xbf5db3d7, v35
	v_add_u32_e32 v0, 0x32ac, v86
	ds_write2_b32 v0, v3, v2 offset1:1
	ds_write_b32 v86, v49 offset:15552
	v_fma_f32 v0, -0.5, v66, v41
	v_mov_b32_e32 v1, v0
	v_fmac_f32_e32 v1, 0x3f5db3d7, v67
	v_add_u32_e32 v2, 0x3cc4, v86
	ds_write2_b32 v2, v50, v1 offset1:1
	v_fma_f32 v1, -0.5, v46, v42
	v_mov_b32_e32 v2, v1
	v_fmac_f32_e32 v0, 0xbf5db3d7, v67
	v_fmac_f32_e32 v2, 0xbf5db3d7, v45
	v_add_u32_e32 v3, 0x3ccc, v86
	v_fmac_f32_e32 v44, -0.5, v48
	ds_write2_b32 v3, v2, v0 offset1:1
	v_fma_f32 v0, -0.5, v69, v43
	v_mov_b32_e32 v2, v44
	v_fmac_f32_e32 v44, 0x3f5db3d7, v47
	v_fmac_f32_e32 v1, 0x3f5db3d7, v45
	ds_write_b32 v86, v44 offset:18164
	ds_write_b32 v86, v1 offset:15572
	;; [unrolled: 1-line block ×3, first 2 shown]
	v_mov_b32_e32 v1, v0
	v_fmac_f32_e32 v1, 0x3f5db3d7, v70
	v_add_u32_e32 v3, 0x46e4, v86
	ds_write2_b32 v3, v52, v1 offset1:1
	v_fmac_f32_e32 v0, 0xbf5db3d7, v70
	v_fmac_f32_e32 v2, 0xbf5db3d7, v47
	v_add_u32_e32 v1, 0x46ec, v86
	ds_write2_b32 v1, v2, v0 offset1:1
	ds_write_b32 v86, v61 offset:20736
	v_fma_f32 v0, -0.5, v68, v53
	v_mov_b32_e32 v1, v0
	v_fmac_f32_e32 v1, 0x3f5db3d7, v71
	v_add_u32_e32 v2, 0x5104, v86
	ds_write2_b32 v2, v62, v1 offset1:1
	v_fma_f32 v1, -0.5, v58, v54
	v_mov_b32_e32 v2, v1
	v_add_f32_e32 v80, v59, v63
	v_fmac_f32_e32 v0, 0xbf5db3d7, v71
	v_fmac_f32_e32 v2, 0xbf5db3d7, v57
	v_add_u32_e32 v3, 0x510c, v86
	v_sub_f32_e32 v82, v60, v64
	v_add_f32_e32 v84, v56, v60
	v_add_f32_e32 v60, v60, v64
	ds_write2_b32 v3, v2, v0 offset1:1
	v_fma_f32 v0, -0.5, v80, v55
	v_add_f32_e32 v72, v55, v59
	v_fmac_f32_e32 v1, 0x3f5db3d7, v57
	v_mov_b32_e32 v2, v0
	v_fmac_f32_e32 v56, -0.5, v60
	v_sub_f32_e32 v59, v59, v63
	v_add_f32_e32 v63, v72, v63
	v_add_f32_e32 v64, v84, v64
	v_fmac_f32_e32 v2, 0x3f5db3d7, v82
	v_mov_b32_e32 v3, v56
	ds_write_b32 v86, v1 offset:20756
	ds_write_b32 v86, v63 offset:23328
	v_add_u32_e32 v1, 0x5b24, v86
	v_fmac_f32_e32 v0, 0xbf5db3d7, v82
	v_fmac_f32_e32 v3, 0xbf5db3d7, v59
	ds_write2_b32 v1, v64, v2 offset1:1
	v_add_u32_e32 v1, 0x5b2c, v86
	v_fmac_f32_e32 v56, 0x3f5db3d7, v59
	ds_write2_b32 v1, v3, v0 offset1:1
	ds_write_b32 v86, v56 offset:23348
	v_mul_lo_u16_sdwa v0, v4, s6 dst_sel:DWORD dst_unused:UNUSED_PAD src0_sel:BYTE_0 src1_sel:DWORD
	v_lshrrev_b16_e32 v24, 9, v0
	v_mul_lo_u16_e32 v0, 3, v24
	v_sub_u16_e32 v29, v4, v0
	v_mov_b32_e32 v0, 4
	v_lshlrev_b32_sdwa v1, v0, v29 dst_sel:DWORD dst_unused:UNUSED_PAD src0_sel:DWORD src1_sel:BYTE_0
	v_add_u16_e32 v28, 0x6c, v4
	s_waitcnt lgkmcnt(0)
	s_barrier
	global_load_dwordx4 v[42:45], v1, s[8:9]
	v_mul_lo_u16_sdwa v1, v28, s6 dst_sel:DWORD dst_unused:UNUSED_PAD src0_sel:BYTE_0 src1_sel:DWORD
	v_lshrrev_b16_e32 v1, 9, v1
	v_mul_lo_u16_e32 v2, 3, v1
	v_sub_u16_e32 v3, v28, v2
	v_lshlrev_b32_sdwa v0, v0, v3 dst_sel:DWORD dst_unused:UNUSED_PAD src0_sel:DWORD src1_sel:BYTE_0
	s_mov_b32 s6, 0xaaab
	v_add_u32_e32 v27, 0xd8, v4
	global_load_dwordx4 v[46:49], v0, s[8:9]
	v_mul_u32_u24_sdwa v0, v27, s6 dst_sel:DWORD dst_unused:UNUSED_PAD src0_sel:WORD_0 src1_sel:DWORD
	v_lshrrev_b32_e32 v8, 17, v0
	v_mul_lo_u16_e32 v0, 3, v8
	v_sub_u16_e32 v9, v27, v0
	v_lshlrev_b32_e32 v0, 4, v9
	v_add_u32_e32 v25, 0x144, v4
	global_load_dwordx4 v[50:53], v0, s[8:9]
	v_mul_u32_u24_sdwa v0, v25, s6 dst_sel:DWORD dst_unused:UNUSED_PAD src0_sel:WORD_0 src1_sel:DWORD
	v_lshrrev_b32_e32 v0, 17, v0
	v_mul_lo_u16_e32 v2, 3, v0
	v_sub_u16_e32 v2, v25, v2
	v_lshlrev_b32_e32 v26, 4, v2
	global_load_dwordx4 v[54:57], v26, s[8:9]
	v_add_u32_e32 v26, 0x1b0, v4
	v_mul_u32_u24_sdwa v30, v26, s6 dst_sel:DWORD dst_unused:UNUSED_PAD src0_sel:WORD_0 src1_sel:DWORD
	v_lshrrev_b32_e32 v30, 17, v30
	v_mul_lo_u16_e32 v31, 3, v30
	v_sub_u16_e32 v31, v26, v31
	v_lshlrev_b32_e32 v32, 4, v31
	v_add_u32_e32 v33, 0x21c, v4
	global_load_dwordx4 v[58:61], v32, s[8:9]
	v_mul_u32_u24_sdwa v32, v33, s6 dst_sel:DWORD dst_unused:UNUSED_PAD src0_sel:WORD_0 src1_sel:DWORD
	v_lshrrev_b32_e32 v32, 17, v32
	v_mul_lo_u16_e32 v34, 3, v32
	v_sub_u16_e32 v33, v33, v34
	v_lshlrev_b32_e32 v34, 4, v33
	v_add_u32_e32 v35, 0x288, v4
	global_load_dwordx4 v[62:65], v34, s[8:9]
	v_mul_u32_u24_sdwa v34, v35, s6 dst_sel:DWORD dst_unused:UNUSED_PAD src0_sel:WORD_0 src1_sel:DWORD
	v_lshrrev_b32_e32 v34, 17, v34
	v_mul_lo_u16_e32 v36, 3, v34
	v_sub_u16_e32 v35, v35, v36
	v_lshlrev_b32_e32 v36, 4, v35
	global_load_dwordx4 v[66:69], v36, s[8:9]
	v_add_u32_e32 v36, 0x2f4, v4
	v_mul_u32_u24_sdwa v37, v36, s6 dst_sel:DWORD dst_unused:UNUSED_PAD src0_sel:WORD_0 src1_sel:DWORD
	v_lshrrev_b32_e32 v38, 17, v37
	v_mul_lo_u16_e32 v37, 3, v38
	v_sub_u16_e32 v39, v36, v37
	v_lshlrev_b32_e32 v36, 4, v39
	v_add_u32_e32 v37, 0x360, v4
	global_load_dwordx4 v[70:73], v36, s[8:9]
	v_mul_u32_u24_sdwa v36, v37, s6 dst_sel:DWORD dst_unused:UNUSED_PAD src0_sel:WORD_0 src1_sel:DWORD
	v_lshrrev_b32_e32 v36, 17, v36
	v_mul_lo_u16_e32 v40, 3, v36
	v_sub_u16_e32 v37, v37, v40
	v_lshlrev_b32_e32 v40, 4, v37
	v_add_u32_e32 v41, 0x3cc, v4
	ds_read2_b64 v[74:77], v20 offset0:56 offset1:164
	ds_read2_b64 v[78:81], v18 offset0:112 offset1:220
	global_load_dwordx4 v[82:85], v40, s[8:9]
	v_mul_u32_u24_sdwa v40, v41, s6 dst_sel:DWORD dst_unused:UNUSED_PAD src0_sel:WORD_0 src1_sel:DWORD
	v_lshrrev_b32_e32 v40, 17, v40
	v_mul_lo_u16_e32 v86, 3, v40
	v_sub_u16_e32 v41, v41, v86
	v_lshlrev_b32_e32 v86, 4, v41
	global_load_dwordx4 v[86:89], v86, s[8:9]
	v_mul_u32_u24_e32 v1, 0x48, v1
	v_mul_u32_u24_e32 v8, 0x48, v8
	v_lshlrev_b32_e32 v9, 3, v9
	v_mul_u32_u24_e32 v0, 0x48, v0
	s_mov_b32 s6, 0xe38f
	s_waitcnt vmcnt(9) lgkmcnt(1)
	v_mul_f32_e32 v90, v43, v75
	v_fma_f32 v90, v42, v74, -v90
	v_mul_f32_e32 v74, v43, v74
	v_fmac_f32_e32 v74, v42, v75
	s_waitcnt lgkmcnt(0)
	v_mul_f32_e32 v42, v79, v45
	v_fma_f32 v75, v78, v44, -v42
	v_mul_f32_e32 v78, v78, v45
	v_fmac_f32_e32 v78, v79, v44
	s_waitcnt vmcnt(8)
	v_mul_f32_e32 v42, v77, v47
	v_fma_f32 v79, v76, v46, -v42
	v_mul_f32_e32 v76, v76, v47
	v_fmac_f32_e32 v76, v77, v46
	v_mul_f32_e32 v46, v81, v49
	ds_read2_b64 v[42:45], v16 offset0:16 offset1:124
	v_fma_f32 v77, v80, v48, -v46
	v_mul_f32_e32 v80, v80, v49
	v_fmac_f32_e32 v80, v81, v48
	ds_read2_b64 v[46:49], v14 offset0:72 offset1:180
	s_waitcnt vmcnt(7) lgkmcnt(1)
	v_mul_f32_e32 v81, v43, v51
	v_fma_f32 v81, v42, v50, -v81
	v_mul_f32_e32 v91, v42, v51
	s_waitcnt vmcnt(6)
	v_mul_f32_e32 v95, v44, v55
	s_waitcnt lgkmcnt(0)
	v_mul_f32_e32 v42, v47, v53
	v_fma_f32 v92, v46, v52, -v42
	v_mul_f32_e32 v42, v45, v55
	v_fmac_f32_e32 v91, v43, v50
	v_mul_f32_e32 v93, v46, v53
	v_fma_f32 v94, v44, v54, -v42
	v_fmac_f32_e32 v95, v45, v54
	v_mul_f32_e32 v46, v49, v57
	ds_read2_b64 v[42:45], v12 offset0:104 offset1:212
	v_mul_f32_e32 v97, v48, v57
	v_fmac_f32_e32 v93, v47, v52
	v_fma_f32 v96, v48, v56, -v46
	v_fmac_f32_e32 v97, v49, v56
	ds_read2_b64 v[46:49], v5 offset0:32 offset1:140
	s_waitcnt vmcnt(5) lgkmcnt(1)
	v_mul_f32_e32 v50, v43, v59
	v_fma_f32 v98, v42, v58, -v50
	v_mul_f32_e32 v99, v42, v59
	s_waitcnt vmcnt(4)
	v_mul_f32_e32 v103, v44, v63
	s_waitcnt lgkmcnt(0)
	v_mul_f32_e32 v42, v47, v61
	v_fma_f32 v100, v46, v60, -v42
	v_mul_f32_e32 v42, v45, v63
	v_fmac_f32_e32 v99, v43, v58
	v_mul_f32_e32 v101, v46, v61
	v_fma_f32 v102, v44, v62, -v42
	v_fmac_f32_e32 v103, v45, v62
	v_mul_f32_e32 v46, v49, v65
	ds_read2_b64 v[42:45], v22 offset0:64 offset1:172
	v_mul_f32_e32 v105, v48, v65
	v_fmac_f32_e32 v101, v47, v60
	v_fma_f32 v104, v48, v64, -v46
	v_fmac_f32_e32 v105, v49, v64
	ds_read2_b64 v[46:49], v21 offset0:120 offset1:228
	s_waitcnt vmcnt(3) lgkmcnt(1)
	v_mul_f32_e32 v50, v43, v67
	v_fma_f32 v106, v42, v66, -v50
	v_mul_f32_e32 v67, v42, v67
	v_fmac_f32_e32 v67, v43, v66
	s_waitcnt lgkmcnt(0)
	v_mul_f32_e32 v42, v47, v69
	v_fma_f32 v66, v46, v68, -v42
	v_mul_f32_e32 v69, v46, v69
	s_waitcnt vmcnt(2)
	v_mul_f32_e32 v42, v45, v71
	v_mul_f32_e32 v71, v44, v71
	v_fmac_f32_e32 v69, v47, v68
	v_fma_f32 v68, v44, v70, -v42
	v_fmac_f32_e32 v71, v45, v70
	v_mul_f32_e32 v46, v49, v73
	ds_read2_b64 v[42:45], v13 offset0:24 offset1:132
	v_mul_f32_e32 v73, v48, v73
	v_fma_f32 v70, v48, v72, -v46
	v_fmac_f32_e32 v73, v49, v72
	ds_read2_b64 v[46:49], v11 offset0:80 offset1:188
	s_waitcnt vmcnt(1) lgkmcnt(1)
	v_mul_f32_e32 v50, v43, v83
	v_fma_f32 v72, v42, v82, -v50
	v_mul_f32_e32 v83, v42, v83
	v_fmac_f32_e32 v83, v43, v82
	s_waitcnt lgkmcnt(0)
	v_mul_f32_e32 v42, v47, v85
	v_fma_f32 v82, v46, v84, -v42
	v_mul_f32_e32 v85, v46, v85
	s_waitcnt vmcnt(0)
	v_mul_f32_e32 v42, v45, v87
	v_mul_f32_e32 v87, v44, v87
	v_fmac_f32_e32 v85, v47, v84
	v_fma_f32 v84, v44, v86, -v42
	v_fmac_f32_e32 v87, v45, v86
	ds_read2_b64 v[42:45], v10 offset1:108
	v_mul_f32_e32 v46, v49, v89
	v_fma_f32 v86, v48, v88, -v46
	v_add_f32_e32 v47, v90, v75
	v_mul_f32_e32 v89, v48, v89
	s_waitcnt lgkmcnt(0)
	v_add_f32_e32 v46, v42, v90
	v_add_f32_e32 v62, v46, v75
	;; [unrolled: 1-line block ×5, first 2 shown]
	v_fma_f32 v42, -0.5, v47, v42
	v_fma_f32 v43, -0.5, v46, v43
	v_mul_u32_u24_e32 v46, 0x48, v24
	v_mov_b32_e32 v24, 3
	v_fmac_f32_e32 v89, v49, v88
	v_sub_f32_e32 v88, v74, v78
	v_sub_f32_e32 v74, v90, v75
	v_lshlrev_b32_sdwa v29, v24, v29 dst_sel:DWORD dst_unused:UNUSED_PAD src0_sel:DWORD src1_sel:BYTE_0
	v_mov_b32_e32 v64, v42
	v_mov_b32_e32 v65, v43
	v_add3_u32 v29, 0, v46, v29
	v_fmac_f32_e32 v64, 0x3f5db3d7, v88
	v_fmac_f32_e32 v65, 0xbf5db3d7, v74
	;; [unrolled: 1-line block ×4, first 2 shown]
	ds_read2_b64 v[46:49], v19 offset0:88 offset1:196
	ds_read2_b64 v[50:53], v17 offset0:48 offset1:156
	;; [unrolled: 1-line block ×4, first 2 shown]
	s_waitcnt lgkmcnt(0)
	s_barrier
	ds_write2_b64 v29, v[62:63], v[64:65] offset1:3
	ds_write_b64 v29, v[42:43] offset:48
	v_add_f32_e32 v29, v44, v79
	v_add_f32_e32 v42, v79, v77
	;; [unrolled: 1-line block ×3, first 2 shown]
	v_fma_f32 v44, -0.5, v42, v44
	v_add_f32_e32 v42, v29, v77
	v_add_f32_e32 v29, v45, v76
	v_fmac_f32_e32 v45, -0.5, v62
	v_add_f32_e32 v43, v29, v80
	v_sub_f32_e32 v29, v76, v80
	v_sub_f32_e32 v64, v79, v77
	v_lshlrev_b32_sdwa v3, v24, v3 dst_sel:DWORD dst_unused:UNUSED_PAD src0_sel:DWORD src1_sel:BYTE_0
	v_mov_b32_e32 v62, v44
	v_mov_b32_e32 v63, v45
	v_add3_u32 v1, 0, v1, v3
	v_fmac_f32_e32 v62, 0x3f5db3d7, v29
	v_fmac_f32_e32 v63, 0xbf5db3d7, v64
	v_fmac_f32_e32 v44, 0xbf5db3d7, v29
	v_fmac_f32_e32 v45, 0x3f5db3d7, v64
	ds_write2_b64 v1, v[42:43], v[62:63] offset1:3
	ds_write_b64 v1, v[44:45] offset:48
	v_add_f32_e32 v1, v46, v81
	v_add_f32_e32 v3, v91, v93
	v_add_f32_e32 v29, v81, v92
	v_add_f32_e32 v42, v1, v92
	v_add_f32_e32 v1, v47, v91
	v_fma_f32 v44, -0.5, v29, v46
	v_fma_f32 v45, -0.5, v3, v47
	v_add_f32_e32 v43, v1, v93
	v_sub_f32_e32 v1, v91, v93
	v_sub_f32_e32 v3, v81, v92
	v_add3_u32 v29, 0, v8, v9
	v_mov_b32_e32 v8, v44
	v_mov_b32_e32 v9, v45
	v_fmac_f32_e32 v8, 0x3f5db3d7, v1
	v_fmac_f32_e32 v9, 0xbf5db3d7, v3
	;; [unrolled: 1-line block ×3, first 2 shown]
	v_add_f32_e32 v1, v48, v94
	ds_write2_b64 v29, v[42:43], v[8:9] offset1:3
	v_add_f32_e32 v8, v1, v96
	v_add_f32_e32 v1, v49, v95
	v_fmac_f32_e32 v45, 0x3f5db3d7, v3
	v_add_f32_e32 v3, v94, v96
	v_add_f32_e32 v9, v1, v97
	;; [unrolled: 1-line block ×3, first 2 shown]
	v_fma_f32 v48, -0.5, v3, v48
	v_fmac_f32_e32 v49, -0.5, v1
	v_lshlrev_b32_e32 v1, 3, v2
	ds_write_b64 v29, v[44:45] offset:48
	v_sub_f32_e32 v3, v95, v97
	v_sub_f32_e32 v29, v94, v96
	v_add3_u32 v2, 0, v0, v1
	v_mov_b32_e32 v0, v48
	v_mov_b32_e32 v1, v49
	v_fmac_f32_e32 v0, 0x3f5db3d7, v3
	v_fmac_f32_e32 v1, 0xbf5db3d7, v29
	;; [unrolled: 1-line block ×4, first 2 shown]
	ds_write2_b64 v2, v[8:9], v[0:1] offset1:3
	ds_write_b64 v2, v[48:49] offset:48
	v_add_f32_e32 v3, v99, v101
	v_add_f32_e32 v2, v98, v100
	v_fma_f32 v2, -0.5, v2, v50
	v_fma_f32 v3, -0.5, v3, v51
	v_mul_u32_u24_e32 v8, 0x48, v30
	v_lshlrev_b32_e32 v9, 3, v31
	v_add_f32_e32 v0, v50, v98
	v_add_f32_e32 v1, v51, v99
	v_sub_f32_e32 v29, v99, v101
	v_sub_f32_e32 v42, v98, v100
	v_add3_u32 v30, 0, v8, v9
	v_mov_b32_e32 v8, v2
	v_mov_b32_e32 v9, v3
	v_add_f32_e32 v0, v0, v100
	v_add_f32_e32 v1, v1, v101
	v_fmac_f32_e32 v8, 0x3f5db3d7, v29
	v_fmac_f32_e32 v9, 0xbf5db3d7, v42
	;; [unrolled: 1-line block ×4, first 2 shown]
	ds_write2_b64 v30, v[0:1], v[8:9] offset1:3
	ds_write_b64 v30, v[2:3] offset:48
	v_add_f32_e32 v1, v102, v104
	v_add_f32_e32 v2, v103, v105
	;; [unrolled: 1-line block ×3, first 2 shown]
	v_fma_f32 v52, -0.5, v1, v52
	v_add_f32_e32 v1, v53, v103
	v_fmac_f32_e32 v53, -0.5, v2
	v_mul_u32_u24_e32 v2, 0x48, v32
	v_lshlrev_b32_e32 v3, 3, v33
	v_sub_f32_e32 v8, v103, v105
	v_sub_f32_e32 v9, v102, v104
	v_add3_u32 v29, 0, v2, v3
	v_mov_b32_e32 v2, v52
	v_mov_b32_e32 v3, v53
	v_add_f32_e32 v0, v0, v104
	v_add_f32_e32 v1, v1, v105
	v_fmac_f32_e32 v2, 0x3f5db3d7, v8
	v_fmac_f32_e32 v3, 0xbf5db3d7, v9
	ds_write2_b64 v29, v[0:1], v[2:3] offset1:3
	v_add_f32_e32 v3, v67, v69
	v_add_f32_e32 v2, v106, v66
	v_fmac_f32_e32 v52, 0xbf5db3d7, v8
	v_fmac_f32_e32 v53, 0x3f5db3d7, v9
	v_fma_f32 v2, -0.5, v2, v54
	v_fma_f32 v3, -0.5, v3, v55
	v_mul_u32_u24_e32 v8, 0x48, v34
	v_lshlrev_b32_e32 v9, 3, v35
	ds_write_b64 v29, v[52:53] offset:48
	v_add_f32_e32 v0, v54, v106
	v_add_f32_e32 v1, v55, v67
	v_sub_f32_e32 v29, v67, v69
	v_sub_f32_e32 v30, v106, v66
	v_add3_u32 v31, 0, v8, v9
	v_mov_b32_e32 v8, v2
	v_mov_b32_e32 v9, v3
	v_add_f32_e32 v0, v0, v66
	v_add_f32_e32 v1, v1, v69
	v_fmac_f32_e32 v8, 0x3f5db3d7, v29
	v_fmac_f32_e32 v9, 0xbf5db3d7, v30
	;; [unrolled: 1-line block ×4, first 2 shown]
	ds_write2_b64 v31, v[0:1], v[8:9] offset1:3
	ds_write_b64 v31, v[2:3] offset:48
	v_add_f32_e32 v1, v68, v70
	v_add_f32_e32 v2, v71, v73
	;; [unrolled: 1-line block ×3, first 2 shown]
	v_fma_f32 v56, -0.5, v1, v56
	v_add_f32_e32 v1, v57, v71
	v_fmac_f32_e32 v57, -0.5, v2
	v_mul_u32_u24_e32 v2, 0x48, v38
	v_lshlrev_b32_e32 v3, 3, v39
	v_sub_f32_e32 v8, v71, v73
	v_sub_f32_e32 v9, v68, v70
	v_add3_u32 v29, 0, v2, v3
	v_mov_b32_e32 v2, v56
	v_mov_b32_e32 v3, v57
	v_add_f32_e32 v0, v0, v70
	v_add_f32_e32 v1, v1, v73
	v_fmac_f32_e32 v2, 0x3f5db3d7, v8
	v_fmac_f32_e32 v3, 0xbf5db3d7, v9
	ds_write2_b64 v29, v[0:1], v[2:3] offset1:3
	v_add_f32_e32 v3, v83, v85
	v_add_f32_e32 v2, v72, v82
	v_fmac_f32_e32 v56, 0xbf5db3d7, v8
	v_fmac_f32_e32 v57, 0x3f5db3d7, v9
	v_fma_f32 v2, -0.5, v2, v58
	v_fma_f32 v3, -0.5, v3, v59
	v_mul_u32_u24_e32 v8, 0x48, v36
	v_lshlrev_b32_e32 v9, 3, v37
	ds_write_b64 v29, v[56:57] offset:48
	v_add_f32_e32 v0, v58, v72
	v_add_f32_e32 v1, v59, v83
	v_sub_f32_e32 v29, v83, v85
	v_sub_f32_e32 v30, v72, v82
	v_add3_u32 v31, 0, v8, v9
	v_mov_b32_e32 v8, v2
	v_mov_b32_e32 v9, v3
	v_add_f32_e32 v0, v0, v82
	v_add_f32_e32 v1, v1, v85
	v_fmac_f32_e32 v8, 0x3f5db3d7, v29
	v_fmac_f32_e32 v9, 0xbf5db3d7, v30
	;; [unrolled: 1-line block ×4, first 2 shown]
	ds_write2_b64 v31, v[0:1], v[8:9] offset1:3
	ds_write_b64 v31, v[2:3] offset:48
	v_add_f32_e32 v1, v84, v86
	v_add_f32_e32 v2, v87, v89
	;; [unrolled: 1-line block ×3, first 2 shown]
	v_fma_f32 v60, -0.5, v1, v60
	v_add_f32_e32 v1, v61, v87
	v_fmac_f32_e32 v61, -0.5, v2
	v_mul_u32_u24_e32 v2, 0x48, v40
	v_lshlrev_b32_e32 v3, 3, v41
	v_sub_f32_e32 v8, v87, v89
	v_sub_f32_e32 v9, v84, v86
	v_add3_u32 v29, 0, v2, v3
	v_mov_b32_e32 v2, v60
	v_mov_b32_e32 v3, v61
	v_add_f32_e32 v0, v0, v86
	v_add_f32_e32 v1, v1, v89
	v_fmac_f32_e32 v2, 0x3f5db3d7, v8
	v_fmac_f32_e32 v3, 0xbf5db3d7, v9
	;; [unrolled: 1-line block ×3, first 2 shown]
	v_mov_b32_e32 v8, 57
	ds_write2_b64 v29, v[0:1], v[2:3] offset1:3
	v_mul_lo_u16_sdwa v0, v4, v8 dst_sel:DWORD dst_unused:UNUSED_PAD src0_sel:BYTE_0 src1_sel:DWORD
	v_lshrrev_b16_e32 v48, 9, v0
	v_mul_lo_u16_e32 v0, 9, v48
	v_fmac_f32_e32 v61, 0x3f5db3d7, v9
	v_sub_u16_e32 v49, v4, v0
	v_mov_b32_e32 v9, 9
	v_mul_u32_u24_sdwa v0, v49, v9 dst_sel:DWORD dst_unused:UNUSED_PAD src0_sel:BYTE_0 src1_sel:DWORD
	v_lshlrev_b32_e32 v47, 3, v0
	v_mul_lo_u16_sdwa v8, v28, v8 dst_sel:DWORD dst_unused:UNUSED_PAD src0_sel:BYTE_0 src1_sel:DWORD
	ds_write_b64 v29, v[60:61] offset:48
	s_waitcnt lgkmcnt(0)
	s_barrier
	global_load_dwordx4 v[0:3], v47, s[8:9] offset:64
	v_lshrrev_b16_e32 v29, 9, v8
	v_mul_lo_u16_e32 v8, 9, v29
	v_sub_u16_e32 v30, v28, v8
	v_mul_u32_u24_sdwa v8, v30, v9 dst_sel:DWORD dst_unused:UNUSED_PAD src0_sel:BYTE_0 src1_sel:DWORD
	v_lshlrev_b32_e32 v50, 3, v8
	global_load_dwordx4 v[31:34], v50, s[8:9] offset:64
	v_mul_u32_u24_sdwa v8, v27, s6 dst_sel:DWORD dst_unused:UNUSED_PAD src0_sel:WORD_0 src1_sel:DWORD
	v_lshrrev_b32_e32 v8, 19, v8
	v_mul_lo_u16_e32 v9, 9, v8
	v_sub_u16_e32 v9, v27, v9
	v_mul_u32_u24_e32 v35, 9, v9
	v_lshlrev_b32_e32 v57, 3, v35
	global_load_dwordx4 v[35:38], v57, s[8:9] offset:64
	global_load_dwordx4 v[39:42], v47, s[8:9] offset:80
	;; [unrolled: 1-line block ×6, first 2 shown]
	v_add_u32_e32 v51, 0x1c00, v10
	ds_read2_b32 v[55:56], v51 offset0:152 offset1:153
	ds_read2_b64 v[51:54], v16 offset0:16 offset1:124
	global_load_dwordx4 v[87:90], v57, s[8:9] offset:96
	global_load_dwordx4 v[95:98], v57, s[8:9] offset:48
	;; [unrolled: 1-line block ×3, first 2 shown]
	global_load_dwordx2 v[99:100], v47, s[8:9] offset:112
	global_load_dwordx2 v[101:102], v50, s[8:9] offset:112
	;; [unrolled: 1-line block ×3, first 2 shown]
	ds_read2_b64 v[79:82], v13 offset0:24 offset1:132
	v_mul_u32_u24_e32 v48, 0x2d0, v48
	v_lshlrev_b32_sdwa v49, v24, v49 dst_sel:DWORD dst_unused:UNUSED_PAD src0_sel:DWORD src1_sel:BYTE_0
	s_mov_b32 s6, 0xbf737871
	s_waitcnt vmcnt(13) lgkmcnt(2)
	v_mul_f32_e32 v58, v56, v1
	v_mul_f32_e32 v69, v1, v55
	v_fma_f32 v70, v0, v55, -v58
	v_fmac_f32_e32 v69, v56, v0
	s_waitcnt lgkmcnt(1)
	v_mul_f32_e32 v0, v52, v3
	v_mul_f32_e32 v71, v51, v3
	v_fma_f32 v73, v51, v2, -v0
	v_fmac_f32_e32 v71, v52, v2
	ds_read2_b64 v[0:3], v20 offset0:56 offset1:164
	ds_read2_b64 v[56:59], v12 offset0:104 offset1:212
	s_waitcnt vmcnt(12)
	v_mul_f32_e32 v47, v54, v34
	v_fma_f32 v55, v53, v33, -v47
	v_mul_f32_e32 v53, v53, v34
	v_fmac_f32_e32 v53, v54, v33
	s_waitcnt lgkmcnt(1)
	v_mul_f32_e32 v33, v1, v32
	v_fma_f32 v52, v0, v31, -v33
	v_mul_f32_e32 v51, v0, v32
	s_waitcnt vmcnt(11)
	v_mul_f32_e32 v0, v3, v36
	v_fmac_f32_e32 v51, v1, v31
	v_fma_f32 v32, v2, v35, -v0
	v_mul_f32_e32 v31, v2, v36
	s_waitcnt lgkmcnt(0)
	v_mul_f32_e32 v0, v57, v38
	v_fmac_f32_e32 v31, v3, v35
	v_fma_f32 v36, v56, v37, -v0
	global_load_dwordx4 v[0:3], v50, s[8:9] offset:48
	v_mul_f32_e32 v33, v56, v38
	s_waitcnt vmcnt(11)
	v_mul_f32_e32 v34, v59, v40
	v_mul_f32_e32 v72, v58, v40
	v_fmac_f32_e32 v33, v57, v37
	v_fma_f32 v74, v58, v39, -v34
	v_fmac_f32_e32 v72, v59, v39
	ds_read2_b64 v[37:40], v22 offset0:64 offset1:172
	v_mul_f32_e32 v34, v80, v42
	v_fma_f32 v78, v79, v41, -v34
	s_waitcnt vmcnt(10)
	v_mul_f32_e32 v34, v82, v46
	v_fma_f32 v59, v81, v45, -v34
	v_mul_f32_e32 v57, v81, v46
	s_waitcnt lgkmcnt(0)
	v_mul_f32_e32 v34, v38, v44
	v_mul_f32_e32 v54, v37, v44
	v_fmac_f32_e32 v57, v82, v45
	v_fma_f32 v56, v37, v43, -v34
	v_fmac_f32_e32 v54, v38, v43
	ds_read2_b64 v[43:46], v18 offset0:112 offset1:220
	s_waitcnt vmcnt(9)
	v_mul_f32_e32 v34, v40, v61
	v_fma_f32 v35, v39, v60, -v34
	v_mul_f32_e32 v34, v39, v61
	v_mul_f32_e32 v76, v79, v42
	s_waitcnt lgkmcnt(0)
	v_mul_f32_e32 v37, v44, v63
	v_mul_f32_e32 v38, v43, v63
	v_fmac_f32_e32 v34, v40, v60
	v_fma_f32 v42, v43, v62, -v37
	v_fmac_f32_e32 v38, v44, v62
	ds_read2_b64 v[60:63], v5 offset0:32 offset1:140
	s_waitcnt vmcnt(8)
	v_mul_f32_e32 v37, v46, v65
	v_mul_f32_e32 v75, v45, v65
	v_fma_f32 v77, v45, v64, -v37
	v_fmac_f32_e32 v75, v46, v64
	ds_read2_b64 v[43:46], v14 offset0:72 offset1:180
	s_waitcnt lgkmcnt(1)
	v_mul_f32_e32 v37, v61, v67
	v_fmac_f32_e32 v76, v80, v41
	v_fma_f32 v82, v60, v66, -v37
	v_mul_f32_e32 v80, v60, v67
	s_waitcnt vmcnt(7)
	v_mul_f32_e32 v37, v63, v86
	v_fmac_f32_e32 v80, v61, v66
	v_fma_f32 v66, v62, v85, -v37
	v_mul_f32_e32 v62, v62, v86
	s_waitcnt lgkmcnt(0)
	v_mul_f32_e32 v37, v44, v84
	v_mul_f32_e32 v58, v43, v84
	v_fmac_f32_e32 v62, v63, v85
	v_fma_f32 v60, v43, v83, -v37
	v_fmac_f32_e32 v58, v44, v83
	ds_read2_b64 v[83:86], v21 offset0:120 offset1:228
	s_waitcnt vmcnt(6)
	v_mul_f32_e32 v37, v46, v88
	v_fma_f32 v40, v45, v87, -v37
	v_mul_f32_e32 v37, v45, v88
	v_fmac_f32_e32 v37, v46, v87
	s_waitcnt lgkmcnt(0)
	v_mul_f32_e32 v39, v84, v90
	v_mul_f32_e32 v44, v83, v90
	v_fma_f32 v46, v83, v89, -v39
	v_fmac_f32_e32 v44, v84, v89
	ds_read2_b64 v[87:90], v11 offset0:80 offset1:188
	s_waitcnt vmcnt(3)
	v_mul_f32_e32 v39, v86, v100
	v_fma_f32 v81, v85, v99, -v39
	v_mul_f32_e32 v79, v85, v100
	ds_read_b64 v[63:64], v10 offset:6912
	s_waitcnt vmcnt(2) lgkmcnt(1)
	v_mul_f32_e32 v39, v88, v102
	v_fmac_f32_e32 v79, v86, v99
	v_fma_f32 v65, v87, v101, -v39
	v_mul_f32_e32 v61, v87, v102
	s_waitcnt vmcnt(1)
	v_mul_f32_e32 v39, v90, v104
	v_mul_f32_e32 v43, v89, v104
	ds_read2_b64 v[83:86], v17 offset0:48 offset1:156
	v_fmac_f32_e32 v61, v88, v101
	v_fma_f32 v45, v89, v103, -v39
	v_fmac_f32_e32 v43, v90, v103
	ds_read2_b64 v[87:90], v23 offset0:136 offset1:244
	s_waitcnt lgkmcnt(2)
	v_mul_f32_e32 v39, v64, v98
	v_mul_f32_e32 v47, v63, v98
	v_fma_f32 v50, v63, v97, -v39
	v_fmac_f32_e32 v47, v64, v97
	ds_read2_b64 v[97:100], v10 offset1:108
	s_waitcnt lgkmcnt(2)
	v_mul_f32_e32 v41, v85, v96
	v_mul_f32_e32 v39, v86, v96
	v_fmac_f32_e32 v41, v86, v95
	s_waitcnt vmcnt(0)
	v_mul_f32_e32 v63, v84, v1
	v_mul_f32_e32 v64, v83, v1
	v_fma_f32 v63, v83, v0, -v63
	v_fmac_f32_e32 v64, v84, v0
	s_waitcnt lgkmcnt(1)
	v_mul_f32_e32 v0, v90, v3
	v_mul_f32_e32 v67, v89, v3
	v_fma_f32 v68, v89, v2, -v0
	v_fmac_f32_e32 v67, v90, v2
	ds_read2_b64 v[0:3], v19 offset0:88 offset1:196
	v_mul_f32_e32 v83, v94, v88
	v_fma_f32 v86, v93, v87, -v83
	v_add3_u32 v103, 0, v48, v49
	s_waitcnt lgkmcnt(1)
	v_add_f32_e32 v48, v97, v86
	s_waitcnt lgkmcnt(0)
	v_mul_f32_e32 v83, v92, v3
	v_add_f32_e32 v48, v48, v73
	v_mul_f32_e32 v84, v94, v87
	v_fma_f32 v83, v91, v2, -v83
	v_mul_f32_e32 v2, v92, v2
	v_add_f32_e32 v48, v48, v78
	v_fma_f32 v39, v85, v95, -v39
	v_fmac_f32_e32 v84, v93, v88
	v_fmac_f32_e32 v2, v91, v3
	v_sub_f32_e32 v3, v86, v73
	v_sub_f32_e32 v85, v82, v78
	v_add_f32_e32 v104, v48, v82
	v_add_f32_e32 v48, v73, v78
	;; [unrolled: 1-line block ×3, first 2 shown]
	v_sub_f32_e32 v85, v84, v71
	v_sub_f32_e32 v87, v80, v76
	v_fma_f32 v105, -0.5, v48, v97
	v_add_f32_e32 v48, v98, v84
	v_add_f32_e32 v85, v85, v87
	v_sub_f32_e32 v87, v70, v74
	v_sub_f32_e32 v88, v81, v77
	v_add_f32_e32 v48, v48, v71
	v_add_f32_e32 v87, v87, v88
	v_sub_f32_e32 v88, v69, v72
	v_sub_f32_e32 v89, v79, v75
	v_add_f32_e32 v90, v72, v75
	v_add_f32_e32 v48, v48, v76
	;; [unrolled: 1-line block ×4, first 2 shown]
	v_fma_f32 v90, -0.5, v90, v2
	v_add_f32_e32 v109, v48, v80
	v_add_f32_e32 v48, v71, v76
	v_fma_f32 v88, -0.5, v88, v83
	v_sub_f32_e32 v93, v70, v81
	v_mov_b32_e32 v101, v90
	v_fma_f32 v110, -0.5, v48, v98
	v_add_f32_e32 v48, v83, v70
	v_sub_f32_e32 v91, v69, v79
	v_mov_b32_e32 v96, v88
	v_fmac_f32_e32 v101, 0xbf737871, v93
	v_sub_f32_e32 v94, v74, v77
	v_add_f32_e32 v48, v48, v74
	v_fmac_f32_e32 v96, 0x3f737871, v91
	v_sub_f32_e32 v92, v72, v75
	v_fmac_f32_e32 v101, 0xbf167918, v94
	v_add_f32_e32 v48, v48, v77
	v_fmac_f32_e32 v96, 0x3f167918, v92
	v_fmac_f32_e32 v101, 0x3e9e377a, v89
	v_sub_f32_e32 v106, v84, v80
	v_mov_b32_e32 v107, v105
	v_sub_f32_e32 v111, v86, v82
	v_mov_b32_e32 v112, v110
	v_add_f32_e32 v114, v48, v81
	v_add_f32_e32 v48, v2, v69
	v_fmac_f32_e32 v96, 0x3e9e377a, v87
	v_mul_f32_e32 v95, 0x3f167918, v101
	v_fmac_f32_e32 v107, 0x3f737871, v106
	v_sub_f32_e32 v108, v71, v76
	v_fmac_f32_e32 v112, 0xbf737871, v111
	v_sub_f32_e32 v113, v73, v78
	v_add_f32_e32 v48, v48, v72
	v_fmac_f32_e32 v95, 0x3f4f1bbd, v96
	v_mul_f32_e32 v96, 0xbf167918, v96
	v_fmac_f32_e32 v107, 0x3f167918, v108
	v_fmac_f32_e32 v112, 0xbf167918, v113
	v_add_f32_e32 v48, v48, v75
	v_fmac_f32_e32 v96, 0x3f4f1bbd, v101
	v_fmac_f32_e32 v107, 0x3e9e377a, v3
	;; [unrolled: 1-line block ×3, first 2 shown]
	v_add_f32_e32 v115, v48, v79
	v_add_f32_e32 v48, v104, v114
	;; [unrolled: 1-line block ×5, first 2 shown]
	s_barrier
	ds_write2_b64 v103, v[48:49], v[101:102] offset1:9
	v_sub_f32_e32 v48, v73, v86
	v_add_f32_e32 v49, v86, v82
	v_sub_f32_e32 v73, v78, v82
	v_add_f32_e32 v48, v48, v73
	v_fma_f32 v73, -0.5, v49, v97
	v_mov_b32_e32 v78, v73
	v_fmac_f32_e32 v78, 0xbf737871, v108
	v_fmac_f32_e32 v73, 0x3f737871, v108
	v_fmac_f32_e32 v78, 0x3f167918, v106
	v_fmac_f32_e32 v73, 0xbf167918, v106
	v_fmac_f32_e32 v78, 0x3e9e377a, v48
	v_fmac_f32_e32 v73, 0x3e9e377a, v48
	v_sub_f32_e32 v48, v71, v84
	v_add_f32_e32 v49, v84, v80
	v_sub_f32_e32 v71, v76, v80
	v_add_f32_e32 v48, v48, v71
	v_fma_f32 v71, -0.5, v49, v98
	v_mov_b32_e32 v76, v71
	v_fmac_f32_e32 v76, 0x3f737871, v113
	v_fmac_f32_e32 v71, 0xbf737871, v113
	;; [unrolled: 1-line block ×6, first 2 shown]
	v_add_f32_e32 v48, v70, v81
	v_fmac_f32_e32 v83, -0.5, v48
	v_sub_f32_e32 v48, v74, v70
	v_sub_f32_e32 v49, v77, v81
	v_add_f32_e32 v48, v48, v49
	v_mov_b32_e32 v49, v83
	v_fmac_f32_e32 v49, 0xbf737871, v92
	v_fmac_f32_e32 v83, 0x3f737871, v92
	v_fmac_f32_e32 v49, 0x3f167918, v91
	v_fmac_f32_e32 v83, 0xbf167918, v91
	v_fmac_f32_e32 v49, 0x3e9e377a, v48
	v_fmac_f32_e32 v83, 0x3e9e377a, v48
	v_add_f32_e32 v48, v69, v79
	v_fmac_f32_e32 v2, -0.5, v48
	v_sub_f32_e32 v48, v72, v69
	v_sub_f32_e32 v69, v75, v79
	v_add_f32_e32 v48, v48, v69
	v_mov_b32_e32 v69, v2
	v_fmac_f32_e32 v69, 0x3f737871, v94
	v_fmac_f32_e32 v2, 0xbf737871, v94
	;; [unrolled: 1-line block ×6, first 2 shown]
	v_mul_f32_e32 v48, 0x3e9e377a, v83
	v_fmac_f32_e32 v88, 0xbf737871, v91
	v_mul_f32_e32 v72, 0x3f737871, v69
	v_mul_f32_e32 v74, 0xbf737871, v49
	v_fma_f32 v75, v2, s7, -v48
	v_mul_f32_e32 v2, 0x3e9e377a, v2
	v_fmac_f32_e32 v88, 0xbf167918, v92
	v_fmac_f32_e32 v90, 0x3f737871, v93
	v_fmac_f32_e32 v72, 0x3e9e377a, v49
	v_fmac_f32_e32 v74, 0x3e9e377a, v69
	v_fma_f32 v77, v83, s6, -v2
	v_fmac_f32_e32 v88, 0x3e9e377a, v87
	v_fmac_f32_e32 v90, 0x3f167918, v94
	v_add_f32_e32 v48, v78, v72
	v_add_f32_e32 v49, v76, v74
	;; [unrolled: 1-line block ×4, first 2 shown]
	v_fmac_f32_e32 v105, 0xbf737871, v106
	v_fmac_f32_e32 v110, 0x3f737871, v111
	;; [unrolled: 1-line block ×3, first 2 shown]
	v_mul_f32_e32 v2, 0x3f4f1bbd, v88
	ds_write2_b64 v103, v[48:49], v[69:70] offset0:18 offset1:27
	v_fmac_f32_e32 v105, 0xbf167918, v108
	v_fmac_f32_e32 v110, 0x3f167918, v113
	v_fma_f32 v69, v90, s11, -v2
	v_mul_f32_e32 v2, 0x3f4f1bbd, v90
	v_fmac_f32_e32 v105, 0x3e9e377a, v3
	v_fmac_f32_e32 v110, 0x3e9e377a, v85
	v_fma_f32 v70, v88, s10, -v2
	v_sub_f32_e32 v48, v104, v114
	v_sub_f32_e32 v49, v109, v115
	v_add_f32_e32 v2, v105, v69
	v_add_f32_e32 v3, v110, v70
	ds_write2_b64 v103, v[2:3], v[48:49] offset0:36 offset1:45
	v_sub_f32_e32 v2, v107, v95
	v_sub_f32_e32 v3, v112, v96
	;; [unrolled: 1-line block ×4, first 2 shown]
	ds_write2_b64 v103, v[2:3], v[48:49] offset0:54 offset1:63
	v_sub_f32_e32 v2, v73, v75
	v_sub_f32_e32 v3, v71, v77
	v_sub_f32_e32 v48, v105, v69
	v_sub_f32_e32 v49, v110, v70
	ds_write2_b64 v103, v[2:3], v[48:49] offset0:72 offset1:81
	v_sub_f32_e32 v2, v68, v55
	v_sub_f32_e32 v3, v66, v59
	v_add_f32_e32 v48, v2, v3
	v_sub_f32_e32 v2, v67, v53
	v_sub_f32_e32 v3, v62, v57
	v_add_f32_e32 v49, v2, v3
	;; [unrolled: 3-line block ×4, first 2 shown]
	v_add_f32_e32 v2, v56, v60
	v_add_f32_e32 v3, v54, v58
	v_fma_f32 v71, -0.5, v2, v63
	v_fma_f32 v74, -0.5, v3, v64
	v_sub_f32_e32 v72, v51, v61
	v_mov_b32_e32 v2, v71
	v_sub_f32_e32 v75, v52, v65
	v_mov_b32_e32 v3, v74
	v_fmac_f32_e32 v2, 0x3f737871, v72
	v_sub_f32_e32 v73, v54, v58
	v_fmac_f32_e32 v3, 0xbf737871, v75
	v_sub_f32_e32 v76, v56, v60
	v_fmac_f32_e32 v2, 0x3f167918, v73
	v_fmac_f32_e32 v3, 0xbf167918, v76
	;; [unrolled: 1-line block ×4, first 2 shown]
	v_mul_f32_e32 v77, 0x3f167918, v3
	v_mul_f32_e32 v78, 0xbf167918, v2
	v_fmac_f32_e32 v77, 0x3f4f1bbd, v2
	v_fmac_f32_e32 v78, 0x3f4f1bbd, v3
	v_mul_u32_u24_e32 v2, 0x2d0, v29
	v_lshlrev_b32_sdwa v3, v24, v30 dst_sel:DWORD dst_unused:UNUSED_PAD src0_sel:DWORD src1_sel:BYTE_0
	v_add3_u32 v79, 0, v2, v3
	v_add_f32_e32 v2, v99, v68
	v_add_f32_e32 v2, v2, v55
	;; [unrolled: 1-line block ×5, first 2 shown]
	v_fma_f32 v81, -0.5, v2, v99
	v_add_f32_e32 v2, v100, v67
	v_add_f32_e32 v2, v2, v53
	;; [unrolled: 1-line block ×5, first 2 shown]
	v_fma_f32 v86, -0.5, v2, v100
	v_add_f32_e32 v2, v63, v52
	v_add_f32_e32 v2, v2, v56
	;; [unrolled: 1-line block ×3, first 2 shown]
	v_sub_f32_e32 v82, v67, v62
	v_mov_b32_e32 v83, v81
	v_sub_f32_e32 v87, v68, v66
	v_mov_b32_e32 v88, v86
	v_add_f32_e32 v90, v2, v65
	v_add_f32_e32 v2, v64, v51
	v_fmac_f32_e32 v83, 0x3f737871, v82
	v_sub_f32_e32 v84, v53, v57
	v_fmac_f32_e32 v88, 0xbf737871, v87
	v_sub_f32_e32 v89, v55, v59
	v_add_f32_e32 v2, v2, v54
	v_fmac_f32_e32 v83, 0x3f167918, v84
	v_fmac_f32_e32 v88, 0xbf167918, v89
	v_add_f32_e32 v2, v2, v58
	v_fmac_f32_e32 v83, 0x3e9e377a, v48
	v_fmac_f32_e32 v88, 0x3e9e377a, v49
	v_add_f32_e32 v91, v2, v61
	v_add_f32_e32 v2, v80, v90
	;; [unrolled: 1-line block ×5, first 2 shown]
	ds_write2_b64 v79, v[2:3], v[29:30] offset1:9
	v_add_f32_e32 v3, v68, v66
	v_sub_f32_e32 v2, v55, v68
	v_fma_f32 v55, -0.5, v3, v99
	v_sub_f32_e32 v29, v59, v66
	v_mov_b32_e32 v59, v55
	v_fmac_f32_e32 v59, 0xbf737871, v84
	v_fmac_f32_e32 v55, 0x3f737871, v84
	v_add_f32_e32 v2, v2, v29
	v_fmac_f32_e32 v59, 0x3f167918, v82
	v_fmac_f32_e32 v55, 0xbf167918, v82
	;; [unrolled: 1-line block ×4, first 2 shown]
	v_add_f32_e32 v2, v67, v62
	v_fmac_f32_e32 v100, -0.5, v2
	v_sub_f32_e32 v2, v53, v67
	v_mov_b32_e32 v53, v100
	v_sub_f32_e32 v3, v57, v62
	v_fmac_f32_e32 v53, 0x3f737871, v89
	v_fmac_f32_e32 v100, 0xbf737871, v89
	v_add_f32_e32 v2, v2, v3
	v_fmac_f32_e32 v53, 0xbf167918, v87
	v_fmac_f32_e32 v100, 0x3f167918, v87
	;; [unrolled: 1-line block ×4, first 2 shown]
	v_add_f32_e32 v2, v52, v65
	v_fmac_f32_e32 v63, -0.5, v2
	v_sub_f32_e32 v2, v56, v52
	v_sub_f32_e32 v3, v60, v65
	v_add_f32_e32 v2, v2, v3
	v_mov_b32_e32 v3, v63
	v_fmac_f32_e32 v3, 0xbf737871, v73
	v_fmac_f32_e32 v63, 0x3f737871, v73
	;; [unrolled: 1-line block ×6, first 2 shown]
	v_add_f32_e32 v2, v51, v61
	v_fmac_f32_e32 v64, -0.5, v2
	v_sub_f32_e32 v2, v54, v51
	v_sub_f32_e32 v29, v58, v61
	v_add_f32_e32 v2, v2, v29
	v_mov_b32_e32 v29, v64
	v_fmac_f32_e32 v29, 0x3f737871, v76
	v_fmac_f32_e32 v64, 0xbf737871, v76
	;; [unrolled: 1-line block ×6, first 2 shown]
	v_mul_f32_e32 v2, 0x3e9e377a, v63
	v_mul_f32_e32 v51, 0x3f737871, v29
	;; [unrolled: 1-line block ×3, first 2 shown]
	v_fma_f32 v54, v64, s7, -v2
	v_mul_f32_e32 v2, 0x3e9e377a, v64
	v_fmac_f32_e32 v71, 0xbf737871, v72
	v_fmac_f32_e32 v51, 0x3e9e377a, v3
	;; [unrolled: 1-line block ×3, first 2 shown]
	v_fma_f32 v56, v63, s6, -v2
	v_fmac_f32_e32 v71, 0xbf167918, v73
	v_fmac_f32_e32 v74, 0x3f737871, v75
	v_add_f32_e32 v2, v59, v51
	v_add_f32_e32 v3, v53, v52
	;; [unrolled: 1-line block ×4, first 2 shown]
	v_fmac_f32_e32 v81, 0xbf737871, v82
	v_fmac_f32_e32 v71, 0x3e9e377a, v69
	;; [unrolled: 1-line block ×3, first 2 shown]
	ds_write2_b64 v79, v[2:3], v[29:30] offset0:18 offset1:27
	v_fmac_f32_e32 v81, 0xbf167918, v84
	v_fmac_f32_e32 v86, 0x3f737871, v87
	;; [unrolled: 1-line block ×3, first 2 shown]
	v_mul_f32_e32 v29, 0x3f4f1bbd, v71
	v_fmac_f32_e32 v81, 0x3e9e377a, v48
	v_fmac_f32_e32 v86, 0x3f167918, v89
	v_fma_f32 v48, v74, s11, -v29
	v_mul_f32_e32 v29, 0x3f4f1bbd, v74
	v_fmac_f32_e32 v86, 0x3e9e377a, v49
	v_fma_f32 v49, v71, s10, -v29
	v_sub_f32_e32 v2, v80, v90
	v_sub_f32_e32 v3, v85, v91
	v_add_f32_e32 v29, v81, v48
	v_add_f32_e32 v30, v86, v49
	ds_write2_b64 v79, v[29:30], v[2:3] offset0:36 offset1:45
	v_sub_f32_e32 v2, v83, v77
	v_sub_f32_e32 v3, v88, v78
	v_sub_f32_e32 v29, v59, v51
	v_sub_f32_e32 v30, v53, v52
	ds_write2_b64 v79, v[2:3], v[29:30] offset0:54 offset1:63
	v_sub_f32_e32 v3, v100, v56
	v_sub_f32_e32 v2, v55, v54
	v_sub_f32_e32 v29, v81, v48
	v_sub_f32_e32 v30, v86, v49
	ds_write2_b64 v79, v[2:3], v[29:30] offset0:72 offset1:81
	v_sub_f32_e32 v2, v50, v36
	v_sub_f32_e32 v3, v46, v42
	v_add_f32_e32 v29, v2, v3
	v_sub_f32_e32 v2, v47, v33
	v_sub_f32_e32 v3, v44, v38
	v_add_f32_e32 v30, v2, v3
	;; [unrolled: 3-line block ×4, first 2 shown]
	v_add_f32_e32 v2, v35, v40
	v_add_f32_e32 v3, v34, v37
	v_fma_f32 v51, -0.5, v2, v39
	v_fma_f32 v54, -0.5, v3, v41
	v_sub_f32_e32 v52, v31, v43
	v_mov_b32_e32 v2, v51
	v_sub_f32_e32 v55, v32, v45
	v_mov_b32_e32 v3, v54
	v_fmac_f32_e32 v2, 0x3f737871, v52
	v_sub_f32_e32 v53, v34, v37
	v_fmac_f32_e32 v3, 0xbf737871, v55
	v_sub_f32_e32 v56, v35, v40
	v_fmac_f32_e32 v2, 0x3f167918, v53
	v_fmac_f32_e32 v3, 0xbf167918, v56
	;; [unrolled: 1-line block ×4, first 2 shown]
	v_mul_f32_e32 v57, 0x3f167918, v3
	v_mul_f32_e32 v58, 0xbf167918, v2
	v_fmac_f32_e32 v57, 0x3f4f1bbd, v2
	v_fmac_f32_e32 v58, 0x3f4f1bbd, v3
	v_mul_u32_u24_e32 v2, 0x2d0, v8
	v_lshlrev_b32_e32 v3, 3, v9
	v_add3_u32 v59, 0, v2, v3
	v_add_f32_e32 v2, v0, v50
	v_add_f32_e32 v2, v2, v36
	;; [unrolled: 1-line block ×5, first 2 shown]
	v_fma_f32 v61, -0.5, v2, v0
	v_add_f32_e32 v2, v1, v47
	v_add_f32_e32 v2, v2, v33
	;; [unrolled: 1-line block ×5, first 2 shown]
	v_fma_f32 v66, -0.5, v2, v1
	v_add_f32_e32 v2, v39, v32
	v_add_f32_e32 v2, v2, v35
	;; [unrolled: 1-line block ×3, first 2 shown]
	v_sub_f32_e32 v62, v47, v44
	v_mov_b32_e32 v63, v61
	v_sub_f32_e32 v67, v50, v46
	v_mov_b32_e32 v68, v66
	v_add_f32_e32 v70, v2, v45
	v_add_f32_e32 v2, v41, v31
	v_fmac_f32_e32 v63, 0x3f737871, v62
	v_sub_f32_e32 v64, v33, v38
	v_fmac_f32_e32 v68, 0xbf737871, v67
	v_sub_f32_e32 v69, v36, v42
	v_add_f32_e32 v2, v2, v34
	v_fmac_f32_e32 v63, 0x3f167918, v64
	v_fmac_f32_e32 v68, 0xbf167918, v69
	v_add_f32_e32 v2, v2, v37
	v_fmac_f32_e32 v63, 0x3e9e377a, v29
	v_fmac_f32_e32 v68, 0x3e9e377a, v30
	v_add_f32_e32 v71, v2, v43
	v_add_f32_e32 v2, v60, v70
	;; [unrolled: 1-line block ×5, first 2 shown]
	ds_write2_b64 v59, v[2:3], v[8:9] offset1:9
	v_add_f32_e32 v3, v50, v46
	v_fma_f32 v0, -0.5, v3, v0
	v_sub_f32_e32 v2, v36, v50
	v_mov_b32_e32 v36, v0
	v_sub_f32_e32 v8, v42, v46
	v_fmac_f32_e32 v36, 0xbf737871, v64
	v_fmac_f32_e32 v0, 0x3f737871, v64
	v_add_f32_e32 v2, v2, v8
	v_fmac_f32_e32 v36, 0x3f167918, v62
	v_fmac_f32_e32 v0, 0xbf167918, v62
	;; [unrolled: 1-line block ×4, first 2 shown]
	v_add_f32_e32 v2, v47, v44
	v_fmac_f32_e32 v1, -0.5, v2
	v_sub_f32_e32 v2, v33, v47
	v_mov_b32_e32 v33, v1
	v_sub_f32_e32 v3, v38, v44
	v_fmac_f32_e32 v33, 0x3f737871, v69
	v_fmac_f32_e32 v1, 0xbf737871, v69
	v_add_f32_e32 v2, v2, v3
	v_fmac_f32_e32 v33, 0xbf167918, v67
	v_fmac_f32_e32 v1, 0x3f167918, v67
	;; [unrolled: 1-line block ×4, first 2 shown]
	v_add_f32_e32 v2, v32, v45
	v_fmac_f32_e32 v39, -0.5, v2
	v_sub_f32_e32 v2, v35, v32
	v_sub_f32_e32 v3, v40, v45
	v_add_f32_e32 v2, v2, v3
	v_mov_b32_e32 v3, v39
	v_fmac_f32_e32 v3, 0xbf737871, v53
	v_fmac_f32_e32 v39, 0x3f737871, v53
	;; [unrolled: 1-line block ×6, first 2 shown]
	v_add_f32_e32 v2, v31, v43
	v_fmac_f32_e32 v41, -0.5, v2
	v_sub_f32_e32 v2, v34, v31
	v_sub_f32_e32 v8, v37, v43
	v_add_f32_e32 v2, v2, v8
	v_mov_b32_e32 v8, v41
	v_fmac_f32_e32 v8, 0x3f737871, v56
	v_fmac_f32_e32 v41, 0xbf737871, v56
	;; [unrolled: 1-line block ×6, first 2 shown]
	v_mul_f32_e32 v2, 0x3e9e377a, v39
	v_mul_f32_e32 v31, 0x3f737871, v8
	;; [unrolled: 1-line block ×3, first 2 shown]
	v_fma_f32 v34, v41, s7, -v2
	v_mul_f32_e32 v2, 0x3e9e377a, v41
	v_fmac_f32_e32 v51, 0xbf737871, v52
	v_fmac_f32_e32 v31, 0x3e9e377a, v3
	;; [unrolled: 1-line block ×3, first 2 shown]
	v_fma_f32 v35, v39, s6, -v2
	v_fmac_f32_e32 v51, 0xbf167918, v53
	v_fmac_f32_e32 v54, 0x3f737871, v55
	v_add_f32_e32 v2, v36, v31
	v_add_f32_e32 v3, v33, v32
	;; [unrolled: 1-line block ×4, first 2 shown]
	v_fmac_f32_e32 v61, 0xbf737871, v62
	v_fmac_f32_e32 v51, 0x3e9e377a, v48
	v_fmac_f32_e32 v54, 0x3f167918, v56
	ds_write2_b64 v59, v[2:3], v[8:9] offset0:18 offset1:27
	v_fmac_f32_e32 v61, 0xbf167918, v64
	v_fmac_f32_e32 v66, 0x3f737871, v67
	;; [unrolled: 1-line block ×3, first 2 shown]
	v_mul_f32_e32 v8, 0x3f4f1bbd, v51
	v_fmac_f32_e32 v61, 0x3e9e377a, v29
	v_fmac_f32_e32 v66, 0x3f167918, v69
	v_fma_f32 v29, v54, s11, -v8
	v_mul_f32_e32 v8, 0x3f4f1bbd, v54
	v_fmac_f32_e32 v66, 0x3e9e377a, v30
	v_fma_f32 v30, v51, s10, -v8
	v_sub_f32_e32 v2, v60, v70
	v_sub_f32_e32 v3, v65, v71
	v_add_f32_e32 v8, v61, v29
	v_add_f32_e32 v9, v66, v30
	ds_write2_b64 v59, v[8:9], v[2:3] offset0:36 offset1:45
	v_sub_f32_e32 v2, v63, v57
	v_sub_f32_e32 v3, v68, v58
	;; [unrolled: 1-line block ×4, first 2 shown]
	ds_write2_b64 v59, v[2:3], v[8:9] offset0:54 offset1:63
	v_sub_f32_e32 v1, v1, v35
	v_sub_f32_e32 v0, v0, v34
	;; [unrolled: 1-line block ×4, first 2 shown]
	s_movk_i32 s6, 0x5a
	ds_write2_b64 v59, v[0:1], v[2:3] offset0:72 offset1:81
	v_add_u32_e32 v0, 0xffffffa6, v4
	v_cmp_gt_u32_e32 vcc, s6, v4
	v_cndmask_b32_e32 v33, v0, v4, vcc
	v_mul_i32_i24_e32 v8, 5, v33
	v_mov_b32_e32 v9, 0
	v_lshlrev_b64 v[0:1], 3, v[8:9]
	v_mov_b32_e32 v8, s9
	v_add_co_u32_e32 v46, vcc, s8, v0
	v_addc_co_u32_e32 v47, vcc, v8, v1, vcc
	s_waitcnt lgkmcnt(0)
	s_barrier
	global_load_dwordx4 v[0:3], v[46:47], off offset:712
	s_movk_i32 s6, 0xb7
	v_mul_lo_u16_sdwa v29, v28, s6 dst_sel:DWORD dst_unused:UNUSED_PAD src0_sel:BYTE_0 src1_sel:DWORD
	v_lshrrev_b16_e32 v31, 14, v29
	v_mul_lo_u16_e32 v29, 0x5a, v31
	v_sub_u16_e32 v32, v28, v29
	v_mov_b32_e32 v28, 5
	v_mul_u32_u24_sdwa v28, v32, v28 dst_sel:DWORD dst_unused:UNUSED_PAD src0_sel:BYTE_0 src1_sel:DWORD
	v_lshlrev_b32_e32 v72, 3, v28
	global_load_dwordx4 v[34:37], v72, s[8:9] offset:712
	s_movk_i32 s6, 0x2d83
	v_mul_u32_u24_sdwa v28, v27, s6 dst_sel:DWORD dst_unused:UNUSED_PAD src0_sel:WORD_0 src1_sel:DWORD
	v_lshrrev_b32_e32 v29, 20, v28
	v_mul_lo_u16_e32 v28, 0x5a, v29
	v_sub_u16_e32 v30, v27, v28
	v_mul_u32_u24_e32 v27, 5, v30
	v_lshlrev_b32_e32 v58, 3, v27
	global_load_dwordx4 v[38:41], v58, s[8:9] offset:712
	v_mul_u32_u24_sdwa v27, v25, s6 dst_sel:DWORD dst_unused:UNUSED_PAD src0_sel:WORD_0 src1_sel:DWORD
	v_lshrrev_b32_e32 v27, 20, v27
	v_mul_lo_u16_e32 v28, 0x5a, v27
	v_sub_u16_e32 v28, v25, v28
	v_mul_u32_u24_e32 v25, 5, v28
	v_lshlrev_b32_e32 v59, 3, v25
	global_load_dwordx4 v[42:45], v59, s[8:9] offset:712
	;; [unrolled: 7-line block ×3, first 2 shown]
	global_load_dwordx2 v[80:81], v[46:47], off offset:728
	global_load_dwordx2 v[82:83], v72, s[8:9] offset:728
	global_load_dwordx2 v[84:85], v58, s[8:9] offset:728
	;; [unrolled: 1-line block ×4, first 2 shown]
	global_load_dwordx4 v[60:63], v52, s[8:9] offset:696
	v_add_u32_e32 v52, 0x3000, v10
	ds_read2_b32 v[56:57], v52 offset0:168 offset1:169
	ds_read2_b64 v[52:55], v18 offset0:112 offset1:220
	global_load_dwordx4 v[64:67], v59, s[8:9] offset:696
	global_load_dwordx4 v[68:71], v[46:47], off offset:696
	ds_read2_b64 v[76:79], v5 offset0:32 offset1:140
	global_load_dwordx4 v[72:75], v72, s[8:9] offset:696
	s_movk_i32 s6, 0x59
	v_cmp_lt_u32_e32 vcc, s6, v4
	v_lshlrev_b32_e32 v33, 3, v33
	v_mul_u32_u24_e32 v29, 0x10e0, v29
	v_lshlrev_b32_e32 v30, 3, v30
	s_movk_i32 s6, 0x21a8
	s_waitcnt vmcnt(13) lgkmcnt(2)
	v_mul_f32_e32 v46, v57, v1
	v_mul_f32_e32 v91, v1, v56
	v_fma_f32 v90, v0, v56, -v46
	v_fmac_f32_e32 v91, v57, v0
	s_waitcnt lgkmcnt(1)
	v_mul_f32_e32 v0, v53, v3
	v_mul_f32_e32 v93, v52, v3
	v_fma_f32 v92, v52, v2, -v0
	v_fmac_f32_e32 v93, v53, v2
	global_load_dwordx4 v[0:3], v58, s[8:9] offset:696
	ds_read2_b64 v[56:59], v22 offset0:64 offset1:172
	s_waitcnt vmcnt(13)
	v_mul_f32_e32 v46, v55, v37
	v_mul_f32_e32 v95, v54, v37
	v_fma_f32 v94, v54, v36, -v46
	v_fmac_f32_e32 v95, v55, v36
	s_waitcnt lgkmcnt(0)
	v_mul_f32_e32 v36, v57, v35
	v_mul_f32_e32 v97, v56, v35
	v_fma_f32 v96, v56, v34, -v36
	v_fmac_f32_e32 v97, v57, v34
	ds_read2_b64 v[34:37], v14 offset0:72 offset1:180
	s_waitcnt vmcnt(12)
	v_mul_f32_e32 v46, v59, v39
	v_mul_f32_e32 v54, v58, v39
	v_fma_f32 v53, v58, v38, -v46
	v_fmac_f32_e32 v54, v59, v38
	s_waitcnt lgkmcnt(0)
	v_mul_f32_e32 v38, v35, v41
	v_mul_f32_e32 v57, v34, v41
	v_fma_f32 v56, v34, v40, -v38
	v_fmac_f32_e32 v57, v35, v40
	ds_read2_b64 v[38:41], v13 offset0:24 offset1:132
	s_waitcnt vmcnt(11)
	v_mul_f32_e32 v34, v37, v45
	v_fma_f32 v46, v36, v44, -v34
	v_mul_f32_e32 v47, v36, v45
	v_fmac_f32_e32 v47, v37, v44
	s_waitcnt lgkmcnt(0)
	v_mul_f32_e32 v34, v39, v43
	v_fma_f32 v44, v38, v42, -v34
	v_mul_f32_e32 v45, v38, v43
	s_waitcnt vmcnt(10)
	v_mul_f32_e32 v34, v41, v49
	v_mul_f32_e32 v35, v40, v49
	v_fmac_f32_e32 v45, v39, v42
	v_fma_f32 v34, v40, v48, -v34
	v_fmac_f32_e32 v35, v41, v48
	ds_read2_b64 v[38:41], v21 offset0:120 offset1:228
	s_waitcnt vmcnt(9)
	v_mul_f32_e32 v42, v79, v81
	v_fma_f32 v98, v78, v80, -v42
	v_mul_f32_e32 v81, v78, v81
	v_fmac_f32_e32 v81, v79, v80
	s_waitcnt vmcnt(8) lgkmcnt(0)
	v_mul_f32_e32 v42, v39, v83
	v_fma_f32 v80, v38, v82, -v42
	v_mul_f32_e32 v83, v38, v83
	s_waitcnt vmcnt(7)
	v_mul_f32_e32 v38, v41, v85
	v_mul_f32_e32 v36, v77, v51
	;; [unrolled: 1-line block ×3, first 2 shown]
	v_fmac_f32_e32 v83, v39, v82
	v_fma_f32 v58, v40, v84, -v38
	v_mul_f32_e32 v59, v40, v85
	ds_read_b64 v[39:40], v10 offset:12096
	v_fma_f32 v36, v76, v50, -v36
	v_fmac_f32_e32 v37, v77, v50
	ds_read2_b64 v[76:79], v15 offset0:96 offset1:204
	ds_read2_b64 v[49:52], v11 offset0:80 offset1:188
	s_waitcnt vmcnt(4) lgkmcnt(2)
	v_mul_f32_e32 v42, v40, v63
	v_mul_f32_e32 v43, v39, v63
	v_fma_f32 v42, v39, v62, -v42
	v_fmac_f32_e32 v43, v40, v62
	s_waitcnt lgkmcnt(1)
	v_mul_f32_e32 v39, v79, v61
	v_mul_f32_e32 v40, v78, v61
	v_fma_f32 v39, v78, v60, -v39
	v_fmac_f32_e32 v40, v79, v60
	ds_read2_b64 v[60:63], v16 offset0:16 offset1:124
	s_waitcnt lgkmcnt(1)
	v_mul_f32_e32 v38, v50, v87
	v_fmac_f32_e32 v59, v41, v84
	v_fma_f32 v48, v49, v86, -v38
	v_mul_f32_e32 v49, v49, v87
	v_mul_f32_e32 v38, v52, v89
	v_mul_f32_e32 v41, v51, v89
	v_fmac_f32_e32 v49, v50, v86
	v_fma_f32 v38, v51, v88, -v38
	v_fmac_f32_e32 v41, v52, v88
	s_waitcnt vmcnt(3)
	v_mul_f32_e32 v50, v77, v65
	v_mul_f32_e32 v51, v76, v65
	s_waitcnt lgkmcnt(0)
	v_mul_f32_e32 v52, v63, v67
	v_mul_f32_e32 v55, v62, v67
	v_fma_f32 v50, v76, v64, -v50
	v_fmac_f32_e32 v51, v77, v64
	v_fma_f32 v52, v62, v66, -v52
	v_fmac_f32_e32 v55, v63, v66
	ds_read2_b64 v[62:65], v23 offset0:136 offset1:244
	v_sub_f32_e32 v84, v91, v81
	v_sub_f32_e32 v85, v90, v98
	s_waitcnt vmcnt(0)
	v_mul_f32_e32 v66, v61, v3
	v_mul_f32_e32 v77, v60, v3
	v_fma_f32 v76, v60, v2, -v66
	v_fmac_f32_e32 v77, v61, v2
	s_waitcnt lgkmcnt(0)
	v_mul_f32_e32 v2, v65, v1
	v_mul_f32_e32 v79, v64, v1
	v_fma_f32 v78, v64, v0, -v2
	v_fmac_f32_e32 v79, v65, v0
	ds_read2_b64 v[64:67], v20 offset0:56 offset1:164
	v_mul_f32_e32 v0, v63, v73
	v_fma_f32 v82, v62, v72, -v0
	v_mul_f32_e32 v73, v62, v73
	v_fmac_f32_e32 v73, v63, v72
	s_waitcnt lgkmcnt(0)
	v_mul_f32_e32 v0, v67, v75
	v_fma_f32 v72, v66, v74, -v0
	ds_read2_b64 v[0:3], v17 offset0:48 offset1:156
	v_mul_f32_e32 v60, v71, v65
	v_mul_f32_e32 v75, v66, v75
	v_fma_f32 v66, v70, v64, -v60
	ds_read2_b64 v[60:63], v10 offset1:108
	v_mul_f32_e32 v64, v71, v64
	v_fmac_f32_e32 v64, v70, v65
	s_waitcnt lgkmcnt(1)
	v_mul_f32_e32 v65, v69, v3
	v_fma_f32 v65, v68, v2, -v65
	v_mul_f32_e32 v2, v69, v2
	v_fmac_f32_e32 v2, v68, v3
	s_waitcnt lgkmcnt(0)
	v_add_f32_e32 v3, v61, v64
	v_fmac_f32_e32 v75, v67, v74
	v_add_f32_e32 v68, v3, v93
	v_sub_f32_e32 v69, v64, v93
	v_add_f32_e32 v3, v64, v93
	v_add_f32_e32 v64, v60, v66
	;; [unrolled: 1-line block ×5, first 2 shown]
	v_sub_f32_e32 v71, v66, v92
	v_add_f32_e32 v66, v65, v90
	v_fmac_f32_e32 v65, -0.5, v67
	v_add_f32_e32 v67, v2, v91
	v_add_f32_e32 v74, v67, v81
	;; [unrolled: 1-line block ×3, first 2 shown]
	v_fmac_f32_e32 v2, -0.5, v67
	v_mov_b32_e32 v86, v65
	v_fmac_f32_e32 v65, 0xbf5db3d7, v84
	v_mov_b32_e32 v87, v2
	v_fmac_f32_e32 v2, 0x3f5db3d7, v85
	v_mul_f32_e32 v88, -0.5, v65
	v_fmac_f32_e32 v88, 0x3f5db3d7, v2
	v_mul_f32_e32 v89, -0.5, v2
	v_mov_b32_e32 v2, 0x10e0
	v_cndmask_b32_e32 v2, 0, v2, vcc
	v_fma_f32 v90, -0.5, v64, v60
	v_fma_f32 v92, -0.5, v3, v61
	v_add_f32_e32 v81, v66, v98
	v_fmac_f32_e32 v89, 0xbf5db3d7, v65
	v_add3_u32 v33, 0, v2, v33
	v_mov_b32_e32 v91, v90
	v_fmac_f32_e32 v90, 0xbf5db3d7, v69
	v_mov_b32_e32 v93, v92
	v_fmac_f32_e32 v92, 0x3f5db3d7, v71
	v_add_f32_e32 v2, v90, v88
	v_add_f32_e32 v3, v92, v89
	v_sub_f32_e32 v60, v70, v81
	v_sub_f32_e32 v61, v68, v74
	v_add_u32_e32 v98, 0x400, v33
	v_fmac_f32_e32 v86, 0x3f5db3d7, v84
	v_fmac_f32_e32 v87, 0xbf5db3d7, v85
	ds_read2_b64 v[64:67], v19 offset0:88 offset1:196
	s_waitcnt lgkmcnt(0)
	s_barrier
	ds_write2_b64 v98, v[2:3], v[60:61] offset0:52 offset1:142
	v_add_f32_e32 v3, v68, v74
	v_fmac_f32_e32 v91, 0x3f5db3d7, v69
	v_mul_f32_e32 v68, 0x3f5db3d7, v87
	v_mul_f32_e32 v69, 0xbf5db3d7, v86
	v_fmac_f32_e32 v93, 0xbf5db3d7, v71
	v_fmac_f32_e32 v68, 0.5, v86
	v_fmac_f32_e32 v69, 0.5, v87
	v_add_f32_e32 v2, v70, v81
	v_add_f32_e32 v60, v91, v68
	;; [unrolled: 1-line block ×3, first 2 shown]
	ds_write2_b64 v33, v[2:3], v[60:61] offset1:90
	v_sub_f32_e32 v2, v91, v68
	v_sub_f32_e32 v3, v93, v69
	;; [unrolled: 1-line block ×4, first 2 shown]
	v_add_u32_e32 v33, 0x800, v33
	ds_write2_b64 v33, v[2:3], v[60:61] offset0:104 offset1:194
	v_add_f32_e32 v2, v63, v75
	v_add_f32_e32 v33, v2, v95
	v_add_f32_e32 v2, v75, v95
	v_add_f32_e32 v69, v96, v80
	v_fmac_f32_e32 v63, -0.5, v2
	v_add_f32_e32 v2, v62, v72
	v_add_f32_e32 v3, v82, v96
	v_fmac_f32_e32 v82, -0.5, v69
	v_sub_f32_e32 v70, v97, v83
	v_add_f32_e32 v71, v97, v83
	v_add_f32_e32 v61, v2, v94
	;; [unrolled: 1-line block ×3, first 2 shown]
	v_sub_f32_e32 v68, v72, v94
	v_add_f32_e32 v69, v73, v97
	v_fmac_f32_e32 v73, -0.5, v71
	v_sub_f32_e32 v72, v96, v80
	v_mov_b32_e32 v74, v82
	v_fmac_f32_e32 v82, 0xbf5db3d7, v70
	v_sub_f32_e32 v60, v75, v95
	v_add_f32_e32 v71, v3, v80
	v_mov_b32_e32 v75, v73
	v_fmac_f32_e32 v73, 0x3f5db3d7, v72
	v_mul_f32_e32 v80, -0.5, v82
	v_fmac_f32_e32 v80, 0x3f5db3d7, v73
	v_mul_f32_e32 v73, -0.5, v73
	v_lshlrev_b32_sdwa v3, v24, v32 dst_sel:DWORD dst_unused:UNUSED_PAD src0_sel:DWORD src1_sel:BYTE_0
	v_mul_u32_u24_e32 v24, 0x10e0, v31
	v_fma_f32 v62, -0.5, v2, v62
	v_add_f32_e32 v69, v69, v83
	v_fmac_f32_e32 v73, 0xbf5db3d7, v82
	v_add3_u32 v24, 0, v24, v3
	v_mov_b32_e32 v81, v62
	v_fmac_f32_e32 v62, 0xbf5db3d7, v60
	v_mov_b32_e32 v82, v63
	v_fmac_f32_e32 v63, 0x3f5db3d7, v68
	v_add_f32_e32 v2, v62, v80
	v_add_f32_e32 v3, v63, v73
	v_sub_f32_e32 v31, v61, v71
	v_sub_f32_e32 v32, v33, v69
	v_add_u32_e32 v83, 0x400, v24
	v_fmac_f32_e32 v74, 0x3f5db3d7, v70
	v_fmac_f32_e32 v75, 0xbf5db3d7, v72
	ds_write2_b64 v83, v[2:3], v[31:32] offset0:52 offset1:142
	v_add_f32_e32 v3, v33, v69
	v_fmac_f32_e32 v81, 0x3f5db3d7, v60
	v_mul_f32_e32 v33, 0x3f5db3d7, v75
	v_mul_f32_e32 v60, 0xbf5db3d7, v74
	v_fmac_f32_e32 v82, 0xbf5db3d7, v68
	v_fmac_f32_e32 v33, 0.5, v74
	v_fmac_f32_e32 v60, 0.5, v75
	v_add_f32_e32 v2, v61, v71
	v_add_f32_e32 v31, v81, v33
	;; [unrolled: 1-line block ×3, first 2 shown]
	ds_write2_b64 v24, v[2:3], v[31:32] offset1:90
	v_sub_f32_e32 v3, v63, v73
	v_sub_f32_e32 v2, v62, v80
	;; [unrolled: 1-line block ×4, first 2 shown]
	v_add_u32_e32 v24, 0x800, v24
	ds_write2_b64 v24, v[31:32], v[2:3] offset0:104 offset1:194
	v_add_f32_e32 v2, v65, v77
	v_add_f32_e32 v24, v2, v57
	v_sub_f32_e32 v31, v77, v57
	v_add_f32_e32 v2, v77, v57
	v_add_f32_e32 v3, v64, v76
	;; [unrolled: 1-line block ×5, first 2 shown]
	v_sub_f32_e32 v33, v76, v56
	v_add_f32_e32 v56, v78, v53
	v_fmac_f32_e32 v78, -0.5, v57
	v_add_f32_e32 v57, v79, v54
	v_sub_f32_e32 v60, v54, v59
	v_add_f32_e32 v54, v54, v59
	v_fmac_f32_e32 v79, -0.5, v54
	v_sub_f32_e32 v53, v53, v58
	v_add_f32_e32 v54, v56, v58
	v_mov_b32_e32 v56, v78
	v_fmac_f32_e32 v78, 0xbf5db3d7, v60
	v_mov_b32_e32 v58, v79
	v_fmac_f32_e32 v79, 0x3f5db3d7, v53
	v_add_f32_e32 v57, v57, v59
	v_mul_f32_e32 v59, -0.5, v78
	v_mul_f32_e32 v61, -0.5, v79
	v_fma_f32 v63, -0.5, v3, v64
	v_fma_f32 v65, -0.5, v2, v65
	v_fmac_f32_e32 v59, 0x3f5db3d7, v79
	v_fmac_f32_e32 v61, 0xbf5db3d7, v78
	v_add3_u32 v62, 0, v29, v30
	v_mov_b32_e32 v64, v63
	v_fmac_f32_e32 v63, 0xbf5db3d7, v31
	v_mov_b32_e32 v68, v65
	v_fmac_f32_e32 v65, 0x3f5db3d7, v33
	v_add_f32_e32 v2, v63, v59
	v_add_f32_e32 v3, v65, v61
	v_sub_f32_e32 v29, v32, v54
	v_sub_f32_e32 v30, v24, v57
	v_add_u32_e32 v69, 0x400, v62
	v_fmac_f32_e32 v56, 0x3f5db3d7, v60
	v_fmac_f32_e32 v58, 0xbf5db3d7, v53
	ds_write2_b64 v69, v[2:3], v[29:30] offset0:52 offset1:142
	v_add_f32_e32 v3, v24, v57
	v_fmac_f32_e32 v64, 0x3f5db3d7, v31
	v_mul_f32_e32 v24, 0x3f5db3d7, v58
	v_mul_f32_e32 v31, 0xbf5db3d7, v56
	v_fmac_f32_e32 v68, 0xbf5db3d7, v33
	v_fmac_f32_e32 v24, 0.5, v56
	v_fmac_f32_e32 v31, 0.5, v58
	v_add_f32_e32 v2, v32, v54
	v_add_f32_e32 v29, v64, v24
	;; [unrolled: 1-line block ×3, first 2 shown]
	ds_write2_b64 v62, v[2:3], v[29:30] offset1:90
	v_sub_f32_e32 v2, v64, v24
	v_sub_f32_e32 v3, v68, v31
	;; [unrolled: 1-line block ×4, first 2 shown]
	v_add_u32_e32 v24, 0x800, v62
	ds_write2_b64 v24, v[2:3], v[29:30] offset0:104 offset1:194
	v_add_f32_e32 v2, v67, v55
	v_add_f32_e32 v24, v2, v47
	;; [unrolled: 1-line block ×4, first 2 shown]
	v_fmac_f32_e32 v67, -0.5, v2
	v_add_f32_e32 v2, v66, v52
	v_add_f32_e32 v3, v50, v44
	v_fmac_f32_e32 v50, -0.5, v32
	v_add_f32_e32 v32, v51, v45
	v_sub_f32_e32 v33, v45, v49
	v_add_f32_e32 v45, v45, v49
	v_add_f32_e32 v30, v2, v46
	;; [unrolled: 1-line block ×3, first 2 shown]
	v_sub_f32_e32 v31, v52, v46
	v_fmac_f32_e32 v51, -0.5, v45
	v_sub_f32_e32 v44, v44, v48
	v_mov_b32_e32 v46, v50
	v_fmac_f32_e32 v50, 0xbf5db3d7, v33
	v_sub_f32_e32 v29, v55, v47
	v_add_f32_e32 v45, v3, v48
	v_mov_b32_e32 v47, v51
	v_fmac_f32_e32 v51, 0x3f5db3d7, v44
	v_mul_f32_e32 v48, -0.5, v50
	v_add_f32_e32 v32, v32, v49
	v_fmac_f32_e32 v48, 0x3f5db3d7, v51
	v_mul_f32_e32 v49, -0.5, v51
	v_mul_u32_u24_e32 v3, 0x10e0, v27
	v_lshlrev_b32_e32 v27, 3, v28
	v_fma_f32 v51, -0.5, v2, v66
	v_fmac_f32_e32 v49, 0xbf5db3d7, v50
	v_add3_u32 v50, 0, v3, v27
	v_mov_b32_e32 v52, v51
	v_fmac_f32_e32 v51, 0xbf5db3d7, v29
	v_mov_b32_e32 v53, v67
	v_fmac_f32_e32 v67, 0x3f5db3d7, v31
	v_add_f32_e32 v2, v51, v48
	v_add_f32_e32 v3, v67, v49
	v_sub_f32_e32 v27, v30, v45
	v_sub_f32_e32 v28, v24, v32
	v_add_u32_e32 v54, 0x400, v50
	v_fmac_f32_e32 v46, 0x3f5db3d7, v33
	v_fmac_f32_e32 v47, 0xbf5db3d7, v44
	ds_write2_b64 v54, v[2:3], v[27:28] offset0:52 offset1:142
	v_add_f32_e32 v3, v24, v32
	v_fmac_f32_e32 v52, 0x3f5db3d7, v29
	v_mul_f32_e32 v24, 0x3f5db3d7, v47
	v_mul_f32_e32 v29, 0xbf5db3d7, v46
	v_fmac_f32_e32 v53, 0xbf5db3d7, v31
	v_fmac_f32_e32 v24, 0.5, v46
	v_fmac_f32_e32 v29, 0.5, v47
	v_add_f32_e32 v2, v30, v45
	v_add_f32_e32 v27, v52, v24
	;; [unrolled: 1-line block ×3, first 2 shown]
	ds_write2_b64 v50, v[2:3], v[27:28] offset1:90
	v_sub_f32_e32 v3, v67, v49
	v_sub_f32_e32 v2, v51, v48
	;; [unrolled: 1-line block ×4, first 2 shown]
	v_add_u32_e32 v24, 0x800, v50
	ds_write2_b64 v24, v[27:28], v[2:3] offset0:104 offset1:194
	v_add_f32_e32 v24, v34, v38
	v_add_f32_e32 v2, v1, v43
	;; [unrolled: 1-line block ×3, first 2 shown]
	v_fmac_f32_e32 v39, -0.5, v24
	v_add_f32_e32 v24, v40, v35
	v_add_f32_e32 v27, v2, v37
	;; [unrolled: 1-line block ×5, first 2 shown]
	v_fmac_f32_e32 v1, -0.5, v2
	v_add_f32_e32 v2, v0, v42
	v_sub_f32_e32 v32, v35, v41
	v_fmac_f32_e32 v40, -0.5, v24
	v_sub_f32_e32 v34, v34, v38
	v_add_f32_e32 v29, v2, v36
	v_add_f32_e32 v2, v42, v36
	v_sub_f32_e32 v30, v42, v36
	v_mov_b32_e32 v35, v39
	v_fmac_f32_e32 v39, 0xbf5db3d7, v32
	v_mov_b32_e32 v36, v40
	v_fmac_f32_e32 v40, 0x3f5db3d7, v34
	v_sub_f32_e32 v28, v43, v37
	v_add_f32_e32 v33, v3, v38
	v_mul_f32_e32 v37, -0.5, v39
	v_mul_f32_e32 v38, -0.5, v40
	v_mul_u32_u24_e32 v3, 0x10e0, v25
	v_lshlrev_b32_e32 v24, 3, v26
	v_fma_f32 v0, -0.5, v2, v0
	v_fmac_f32_e32 v37, 0x3f5db3d7, v40
	v_fmac_f32_e32 v38, 0xbf5db3d7, v39
	v_add3_u32 v26, 0, v3, v24
	v_mov_b32_e32 v39, v0
	v_fmac_f32_e32 v0, 0xbf5db3d7, v28
	v_mov_b32_e32 v40, v1
	v_fmac_f32_e32 v1, 0x3f5db3d7, v30
	v_add_f32_e32 v2, v0, v37
	v_add_f32_e32 v3, v1, v38
	v_sub_f32_e32 v24, v29, v33
	v_sub_f32_e32 v25, v27, v31
	v_add_u32_e32 v41, 0x400, v26
	v_fmac_f32_e32 v35, 0x3f5db3d7, v32
	v_fmac_f32_e32 v36, 0xbf5db3d7, v34
	ds_write2_b64 v41, v[2:3], v[24:25] offset0:52 offset1:142
	v_add_f32_e32 v3, v27, v31
	v_fmac_f32_e32 v39, 0x3f5db3d7, v28
	v_mul_f32_e32 v27, 0x3f5db3d7, v36
	v_mul_f32_e32 v28, 0xbf5db3d7, v35
	v_fmac_f32_e32 v40, 0xbf5db3d7, v30
	v_fmac_f32_e32 v27, 0.5, v35
	v_fmac_f32_e32 v28, 0.5, v36
	v_add_f32_e32 v2, v29, v33
	v_add_f32_e32 v24, v39, v27
	;; [unrolled: 1-line block ×3, first 2 shown]
	ds_write2_b64 v26, v[2:3], v[24:25] offset1:90
	v_sub_f32_e32 v1, v1, v38
	v_sub_f32_e32 v0, v0, v37
	;; [unrolled: 1-line block ×4, first 2 shown]
	v_add_u32_e32 v24, 0x800, v26
	ds_write2_b64 v24, v[2:3], v[0:1] offset0:104 offset1:194
	v_mul_u32_u24_e32 v0, 5, v4
	v_lshlrev_b32_e32 v0, 3, v0
	v_add_co_u32_e32 v81, vcc, s8, v0
	v_addc_co_u32_e32 v82, vcc, 0, v8, vcc
	v_add_co_u32_e32 v24, vcc, s6, v81
	v_addc_co_u32_e32 v25, vcc, 0, v82, vcc
	s_waitcnt lgkmcnt(0)
	s_barrier
	global_load_dwordx2 v[28:29], v[24:25], off offset:32
	s_movk_i32 s6, 0x3288
	v_add_co_u32_e32 v26, vcc, s6, v81
	v_addc_co_u32_e32 v27, vcc, 0, v82, vcc
	global_load_dwordx2 v[30:31], v[26:27], off offset:32
	s_movk_i32 s6, 0x4368
	v_add_co_u32_e32 v32, vcc, s6, v81
	v_addc_co_u32_e32 v33, vcc, 0, v82, vcc
	global_load_dwordx2 v[38:39], v[32:33], off offset:32
	v_add_u32_e32 v0, 0x4380, v0
	v_add_co_u32_e32 v40, vcc, s8, v0
	s_movk_i32 s6, 0x10c8
	v_addc_co_u32_e32 v8, vcc, 0, v8, vcc
	v_add_co_u32_e32 v34, vcc, s6, v40
	v_addc_co_u32_e32 v35, vcc, 0, v8, vcc
	global_load_dwordx2 v[77:78], v[34:35], off offset:32
	v_add_co_u32_e32 v36, vcc, s6, v81
	v_addc_co_u32_e32 v37, vcc, 0, v82, vcc
	global_load_dwordx2 v[79:80], v[36:37], off offset:32
	global_load_dwordx4 v[0:3], v[34:35], off offset:16
	global_load_dwordx4 v[41:44], v[32:33], off offset:16
	;; [unrolled: 1-line block ×4, first 2 shown]
	ds_read2_b64 v[24:27], v21 offset0:120 offset1:228
	global_load_dwordx4 v[57:60], v[36:37], off offset:16
	v_add_co_u32_e32 v32, vcc, s5, v81
	v_addc_co_u32_e32 v33, vcc, 0, v82, vcc
	global_load_dwordx4 v[61:64], v[32:33], off offset:424
	v_add_co_u32_e32 v32, vcc, s4, v40
	v_addc_co_u32_e32 v33, vcc, 0, v8, vcc
	s_movk_i32 s5, 0x4000
	global_load_dwordx4 v[65:68], v[32:33], off offset:200
	ds_read2_b64 v[45:48], v5 offset0:32 offset1:140
	s_waitcnt vmcnt(11) lgkmcnt(1)
	v_mul_f32_e32 v34, v25, v29
	v_fma_f32 v83, v24, v28, -v34
	v_mul_f32_e32 v84, v24, v29
	v_add_co_u32_e32 v24, vcc, s5, v81
	v_fmac_f32_e32 v84, v25, v28
	v_addc_co_u32_e32 v25, vcc, 0, v82, vcc
	s_movk_i32 s5, 0x3000
	global_load_dwordx4 v[69:72], v[24:25], off offset:872
	v_add_co_u32_e32 v24, vcc, s5, v81
	v_addc_co_u32_e32 v25, vcc, 0, v82, vcc
	global_load_dwordx4 v[73:76], v[24:25], off offset:648
	ds_read2_b64 v[32:35], v11 offset0:80 offset1:188
	s_waitcnt vmcnt(12)
	v_mul_f32_e32 v8, v27, v31
	v_fma_f32 v37, v26, v30, -v8
	v_mul_f32_e32 v40, v26, v31
	v_fmac_f32_e32 v40, v27, v30
	s_waitcnt vmcnt(11) lgkmcnt(0)
	v_mul_f32_e32 v8, v33, v39
	v_fma_f32 v31, v32, v38, -v8
	v_mul_f32_e32 v32, v32, v39
	s_waitcnt vmcnt(10)
	v_mul_f32_e32 v8, v35, v78
	s_waitcnt vmcnt(9)
	v_mul_f32_e32 v25, v48, v80
	v_fma_f32 v85, v47, v79, -v25
	v_add_co_u32_e32 v25, vcc, s4, v81
	v_mul_f32_e32 v24, v34, v78
	v_mul_f32_e32 v86, v47, v80
	v_addc_co_u32_e32 v26, vcc, 0, v82, vcc
	v_fma_f32 v8, v34, v77, -v8
	v_fmac_f32_e32 v24, v35, v77
	v_fmac_f32_e32 v86, v48, v79
	global_load_dwordx4 v[77:80], v[25:26], off offset:200
	v_fmac_f32_e32 v32, v33, v38
	ds_read2_b64 v[33:36], v13 offset0:24 offset1:132
	s_waitcnt vmcnt(9)
	v_mul_f32_e32 v27, v46, v3
	v_mul_f32_e32 v28, v45, v3
	v_fma_f32 v26, v45, v2, -v27
	v_fmac_f32_e32 v28, v46, v2
	s_waitcnt lgkmcnt(0)
	v_mul_f32_e32 v2, v36, v1
	v_mul_f32_e32 v27, v35, v1
	v_fma_f32 v25, v35, v0, -v2
	v_fmac_f32_e32 v27, v36, v0
	ds_read2_b64 v[0:3], v14 offset0:72 offset1:180
	s_waitcnt vmcnt(8)
	v_mul_f32_e32 v29, v34, v42
	v_mul_f32_e32 v36, v33, v42
	v_fma_f32 v35, v33, v41, -v29
	v_fmac_f32_e32 v36, v34, v41
	s_waitcnt lgkmcnt(0)
	v_mul_f32_e32 v29, v3, v44
	v_mul_f32_e32 v41, v2, v44
	v_fma_f32 v38, v2, v43, -v29
	v_fmac_f32_e32 v41, v3, v43
	ds_read2_b64 v[42:45], v22 offset0:64 offset1:172
	s_waitcnt vmcnt(7)
	v_mul_f32_e32 v2, v1, v52
	v_fma_f32 v48, v0, v51, -v2
	v_mul_f32_e32 v47, v0, v52
	v_fmac_f32_e32 v47, v1, v51
	s_waitcnt lgkmcnt(0)
	v_mul_f32_e32 v0, v45, v50
	v_fma_f32 v81, v44, v49, -v0
	ds_read2_b64 v[0:3], v18 offset0:112 offset1:220
	v_mul_f32_e32 v82, v44, v50
	s_waitcnt vmcnt(6)
	v_mul_f32_e32 v29, v43, v54
	v_mul_f32_e32 v88, v42, v54
	v_fmac_f32_e32 v82, v45, v49
	v_fma_f32 v87, v42, v53, -v29
	v_fmac_f32_e32 v88, v43, v53
	ds_read2_b64 v[42:45], v12 offset0:104 offset1:212
	s_waitcnt lgkmcnt(1)
	v_mul_f32_e32 v29, v3, v56
	v_fma_f32 v89, v2, v55, -v29
	v_mul_f32_e32 v90, v2, v56
	s_waitcnt vmcnt(5)
	v_mul_f32_e32 v2, v1, v60
	v_fma_f32 v91, v0, v59, -v2
	v_mul_f32_e32 v92, v0, v60
	s_waitcnt lgkmcnt(0)
	v_mul_f32_e32 v0, v58, v45
	v_fmac_f32_e32 v90, v3, v55
	v_fmac_f32_e32 v92, v1, v59
	v_fma_f32 v93, v57, v44, -v0
	ds_read2_b64 v[0:3], v15 offset0:96 offset1:204
	ds_read2_b64 v[49:52], v16 offset0:16 offset1:124
	s_waitcnt vmcnt(3)
	v_mul_f32_e32 v29, v43, v68
	v_fma_f32 v33, v42, v67, -v29
	v_mul_f32_e32 v34, v42, v68
	s_waitcnt lgkmcnt(1)
	v_mul_f32_e32 v29, v3, v66
	v_fma_f32 v29, v2, v65, -v29
	v_mul_f32_e32 v30, v2, v66
	v_mul_f32_e32 v94, v58, v44
	s_waitcnt vmcnt(2)
	v_mul_f32_e32 v2, v1, v70
	v_fmac_f32_e32 v34, v43, v67
	v_fma_f32 v43, v0, v69, -v2
	v_mul_f32_e32 v44, v0, v70
	s_waitcnt lgkmcnt(0)
	v_mul_f32_e32 v0, v52, v72
	v_fmac_f32_e32 v94, v57, v45
	v_fmac_f32_e32 v30, v3, v65
	;; [unrolled: 1-line block ×3, first 2 shown]
	v_fma_f32 v45, v51, v71, -v0
	ds_read2_b64 v[0:3], v23 offset0:136 offset1:244
	v_mul_f32_e32 v46, v51, v72
	s_waitcnt vmcnt(1)
	v_mul_f32_e32 v39, v50, v76
	v_mul_f32_e32 v66, v49, v76
	v_fmac_f32_e32 v46, v52, v71
	v_fma_f32 v65, v49, v75, -v39
	v_fmac_f32_e32 v66, v50, v75
	ds_read2_b64 v[49:52], v20 offset0:56 offset1:164
	s_waitcnt lgkmcnt(1)
	v_mul_f32_e32 v39, v3, v74
	v_fma_f32 v67, v2, v73, -v39
	v_mul_f32_e32 v68, v2, v74
	v_mul_f32_e32 v2, v1, v62
	v_fma_f32 v69, v0, v61, -v2
	v_mul_f32_e32 v62, v0, v62
	s_waitcnt lgkmcnt(0)
	v_mul_f32_e32 v0, v52, v64
	v_mul_f32_e32 v64, v51, v64
	v_fmac_f32_e32 v62, v1, v61
	s_waitcnt vmcnt(0)
	v_mul_f32_e32 v39, v80, v50
	v_mul_f32_e32 v70, v80, v49
	v_fma_f32 v61, v51, v63, -v0
	v_fmac_f32_e32 v64, v52, v63
	v_fma_f32 v63, v79, v49, -v39
	v_fmac_f32_e32 v70, v79, v50
	ds_read2_b64 v[49:52], v10 offset1:108
	v_fmac_f32_e32 v68, v3, v73
	ds_read2_b64 v[0:3], v17 offset0:48 offset1:156
	v_add_f32_e32 v79, v87, v83
	v_add_f32_e32 v80, v88, v84
	s_waitcnt lgkmcnt(1)
	v_add_f32_e32 v53, v51, v61
	v_add_f32_e32 v73, v53, v89
	s_waitcnt lgkmcnt(0)
	v_mul_f32_e32 v39, v78, v3
	v_mul_f32_e32 v72, v78, v2
	v_add_f32_e32 v53, v52, v64
	v_fma_f32 v71, v77, v2, -v39
	v_fmac_f32_e32 v72, v77, v3
	v_add_f32_e32 v74, v53, v90
	v_add_f32_e32 v53, v69, v87
	v_add_f32_e32 v2, v49, v63
	v_add_f32_e32 v3, v50, v70
	v_add_f32_e32 v39, v71, v93
	v_add_f32_e32 v42, v72, v94
	v_add_f32_e32 v75, v53, v83
	v_add_f32_e32 v53, v62, v88
	v_add_f32_e32 v2, v2, v91
	v_add_f32_e32 v3, v3, v92
	v_add_f32_e32 v39, v39, v85
	v_add_f32_e32 v42, v42, v86
	v_add_f32_e32 v76, v53, v84
	v_add_f32_e32 v57, v2, v39
	v_add_f32_e32 v58, v3, v42
	v_add_f32_e32 v59, v73, v75
	v_add_f32_e32 v60, v74, v76
	ds_read2_b64 v[53:56], v19 offset0:88 offset1:196
	s_waitcnt lgkmcnt(0)
	s_barrier
	ds_write2_b64 v10, v[57:58], v[59:60] offset1:108
	v_add_f32_e32 v60, v93, v85
	v_add_f32_e32 v58, v63, v91
	v_sub_f32_e32 v59, v63, v91
	v_fmac_f32_e32 v71, -0.5, v60
	v_sub_f32_e32 v60, v94, v86
	v_add_f32_e32 v63, v94, v86
	v_sub_f32_e32 v10, v70, v92
	v_add_f32_e32 v57, v70, v92
	v_fmac_f32_e32 v72, -0.5, v63
	v_sub_f32_e32 v63, v93, v85
	v_mov_b32_e32 v70, v71
	v_fmac_f32_e32 v71, 0xbf5db3d7, v60
	v_mov_b32_e32 v77, v72
	v_fmac_f32_e32 v72, 0x3f5db3d7, v63
	v_mul_f32_e32 v78, -0.5, v71
	v_fmac_f32_e32 v69, -0.5, v79
	v_sub_f32_e32 v79, v88, v84
	v_fmac_f32_e32 v78, 0x3f5db3d7, v72
	v_mul_f32_e32 v72, -0.5, v72
	v_fmac_f32_e32 v62, -0.5, v80
	v_sub_f32_e32 v80, v87, v83
	v_mov_b32_e32 v83, v69
	v_fmac_f32_e32 v69, 0xbf5db3d7, v79
	v_fmac_f32_e32 v72, 0xbf5db3d7, v71
	v_sub_f32_e32 v71, v64, v90
	v_add_f32_e32 v64, v64, v90
	v_mov_b32_e32 v84, v62
	v_fmac_f32_e32 v62, 0x3f5db3d7, v80
	v_mul_f32_e32 v85, -0.5, v69
	v_fmac_f32_e32 v52, -0.5, v64
	v_add_f32_e32 v64, v61, v89
	v_fmac_f32_e32 v85, 0x3f5db3d7, v62
	v_mul_f32_e32 v62, -0.5, v62
	v_sub_f32_e32 v61, v61, v89
	v_fmac_f32_e32 v62, 0xbf5db3d7, v69
	v_fma_f32 v69, -0.5, v58, v49
	v_fma_f32 v87, -0.5, v57, v50
	;; [unrolled: 1-line block ×3, first 2 shown]
	v_mov_b32_e32 v86, v69
	v_fmac_f32_e32 v69, 0xbf5db3d7, v10
	v_mov_b32_e32 v88, v87
	v_fmac_f32_e32 v87, 0x3f5db3d7, v59
	;; [unrolled: 2-line block ×4, first 2 shown]
	v_add_f32_e32 v49, v69, v78
	v_add_f32_e32 v50, v87, v72
	;; [unrolled: 1-line block ×4, first 2 shown]
	v_fmac_f32_e32 v70, 0x3f5db3d7, v60
	v_fmac_f32_e32 v77, 0xbf5db3d7, v63
	;; [unrolled: 1-line block ×4, first 2 shown]
	ds_write2_b64 v20, v[49:50], v[57:58] offset0:56 offset1:164
	v_fmac_f32_e32 v86, 0x3f5db3d7, v10
	v_fmac_f32_e32 v88, 0xbf5db3d7, v59
	v_mul_f32_e32 v10, 0x3f5db3d7, v77
	v_mul_f32_e32 v59, 0xbf5db3d7, v70
	;; [unrolled: 1-line block ×4, first 2 shown]
	v_fmac_f32_e32 v10, 0.5, v70
	v_fmac_f32_e32 v59, 0.5, v77
	v_fmac_f32_e32 v64, 0x3f5db3d7, v71
	v_fmac_f32_e32 v89, 0xbf5db3d7, v61
	v_fmac_f32_e32 v20, 0.5, v83
	v_fmac_f32_e32 v60, 0.5, v84
	v_sub_f32_e32 v49, v86, v10
	v_sub_f32_e32 v50, v88, v59
	;; [unrolled: 1-line block ×4, first 2 shown]
	ds_write2_b64 v18, v[49:50], v[57:58] offset0:112 offset1:220
	v_add_f32_e32 v49, v64, v20
	v_add_f32_e32 v20, v81, v37
	;; [unrolled: 1-line block ×4, first 2 shown]
	v_fmac_f32_e32 v67, -0.5, v20
	v_add_f32_e32 v20, v68, v82
	v_fmac_f32_e32 v68, -0.5, v57
	v_sub_f32_e32 v61, v81, v37
	v_mov_b32_e32 v58, v68
	v_add_f32_e32 v50, v89, v60
	v_sub_f32_e32 v60, v82, v40
	v_mov_b32_e32 v57, v67
	v_fmac_f32_e32 v58, 0xbf5db3d7, v61
	v_fmac_f32_e32 v57, 0x3f5db3d7, v60
	v_mul_f32_e32 v63, 0x3f5db3d7, v58
	v_fmac_f32_e32 v63, 0.5, v57
	v_mul_f32_e32 v64, 0xbf5db3d7, v57
	v_add_f32_e32 v57, v65, v48
	v_fma_f32 v70, -0.5, v57, v53
	v_add_f32_e32 v57, v66, v47
	v_fma_f32 v79, -0.5, v57, v54
	v_sub_f32_e32 v71, v66, v47
	v_mov_b32_e32 v77, v70
	v_sub_f32_e32 v80, v65, v48
	v_mov_b32_e32 v81, v79
	v_fmac_f32_e32 v64, 0.5, v58
	v_fmac_f32_e32 v77, 0x3f5db3d7, v71
	v_fmac_f32_e32 v81, 0xbf5db3d7, v80
	v_add_f32_e32 v57, v77, v63
	v_add_f32_e32 v58, v81, v64
	ds_write2_b64 v23, v[49:50], v[57:58] offset0:136 offset1:244
	v_add_f32_e32 v23, v53, v65
	v_add_f32_e32 v53, v23, v48
	;; [unrolled: 1-line block ×6, first 2 shown]
	v_sub_f32_e32 v49, v73, v75
	v_sub_f32_e32 v50, v74, v76
	;; [unrolled: 1-line block ×4, first 2 shown]
	v_fmac_f32_e32 v67, 0xbf5db3d7, v60
	v_fmac_f32_e32 v68, 0x3f5db3d7, v61
	ds_write2_b64 v22, v[49:50], v[47:48] offset0:64 offset1:172
	v_mul_f32_e32 v40, -0.5, v67
	v_mul_f32_e32 v49, -0.5, v68
	v_fmac_f32_e32 v70, 0xbf5db3d7, v71
	v_fmac_f32_e32 v79, 0x3f5db3d7, v80
	;; [unrolled: 1-line block ×4, first 2 shown]
	v_sub_f32_e32 v23, v52, v62
	v_sub_f32_e32 v22, v51, v85
	;; [unrolled: 1-line block ×4, first 2 shown]
	v_add_f32_e32 v20, v53, v18
	v_add_f32_e32 v18, v55, v45
	ds_write2_b64 v21, v[22:23], v[47:48] offset0:120 offset1:228
	v_add_f32_e32 v21, v54, v37
	v_add_f32_e32 v37, v18, v38
	;; [unrolled: 1-line block ×10, first 2 shown]
	ds_write2_b64 v19, v[20:21], v[22:23] offset0:88 offset1:196
	v_add_f32_e32 v21, v35, v31
	v_add_f32_e32 v20, v46, v41
	v_fmac_f32_e32 v43, -0.5, v21
	v_add_f32_e32 v21, v36, v32
	v_fmac_f32_e32 v56, -0.5, v20
	v_add_f32_e32 v20, v45, v38
	v_sub_f32_e32 v23, v45, v38
	v_sub_f32_e32 v38, v36, v32
	v_fmac_f32_e32 v44, -0.5, v21
	v_sub_f32_e32 v31, v35, v31
	v_mov_b32_e32 v32, v43
	v_fmac_f32_e32 v43, 0xbf5db3d7, v38
	v_mov_b32_e32 v35, v44
	v_fmac_f32_e32 v44, 0x3f5db3d7, v31
	v_add_f32_e32 v18, v70, v40
	v_sub_f32_e32 v22, v46, v41
	v_mul_f32_e32 v36, -0.5, v43
	v_mul_f32_e32 v40, -0.5, v44
	v_fma_f32 v41, -0.5, v20, v55
	v_fmac_f32_e32 v36, 0x3f5db3d7, v44
	v_fmac_f32_e32 v40, 0xbf5db3d7, v43
	v_mov_b32_e32 v43, v41
	v_fmac_f32_e32 v41, 0xbf5db3d7, v22
	v_mov_b32_e32 v44, v56
	v_fmac_f32_e32 v56, 0x3f5db3d7, v23
	v_add_f32_e32 v19, v79, v49
	v_add_f32_e32 v20, v41, v36
	;; [unrolled: 1-line block ×3, first 2 shown]
	v_fmac_f32_e32 v32, 0x3f5db3d7, v38
	v_fmac_f32_e32 v35, 0xbf5db3d7, v31
	ds_write2_b64 v16, v[18:19], v[20:21] offset0:16 offset1:124
	v_fmac_f32_e32 v43, 0x3f5db3d7, v22
	v_mul_f32_e32 v16, 0x3f5db3d7, v35
	v_mul_f32_e32 v22, 0xbf5db3d7, v32
	v_fmac_f32_e32 v44, 0xbf5db3d7, v23
	v_fmac_f32_e32 v16, 0.5, v32
	v_fmac_f32_e32 v22, 0.5, v35
	v_sub_f32_e32 v18, v77, v63
	v_sub_f32_e32 v19, v81, v64
	;; [unrolled: 1-line block ×4, first 2 shown]
	ds_write2_b64 v14, v[18:19], v[20:21] offset0:72 offset1:180
	v_add_f32_e32 v14, v1, v34
	v_add_f32_e32 v23, v14, v28
	;; [unrolled: 1-line block ×12, first 2 shown]
	ds_write2_b64 v17, v[20:21], v[18:19] offset0:48 offset1:156
	v_add_f32_e32 v18, v25, v8
	v_fmac_f32_e32 v29, -0.5, v18
	v_add_f32_e32 v18, v27, v24
	v_add_f32_e32 v14, v34, v28
	v_fmac_f32_e32 v30, -0.5, v18
	v_fmac_f32_e32 v1, -0.5, v14
	v_add_f32_e32 v14, v33, v26
	v_sub_f32_e32 v21, v27, v24
	v_sub_f32_e32 v8, v25, v8
	v_mov_b32_e32 v18, v29
	v_mov_b32_e32 v19, v30
	v_fmac_f32_e32 v18, 0x3f5db3d7, v21
	v_fmac_f32_e32 v19, 0xbf5db3d7, v8
	v_fma_f32 v0, -0.5, v14, v0
	v_add_f32_e32 v17, v44, v22
	v_sub_f32_e32 v22, v34, v28
	v_sub_f32_e32 v20, v33, v26
	v_mul_f32_e32 v24, 0x3f5db3d7, v19
	v_mul_f32_e32 v25, 0xbf5db3d7, v18
	v_mov_b32_e32 v26, v0
	v_mov_b32_e32 v27, v1
	v_fmac_f32_e32 v30, 0x3f5db3d7, v8
	v_fmac_f32_e32 v24, 0.5, v18
	v_fmac_f32_e32 v25, 0.5, v19
	v_fmac_f32_e32 v26, 0x3f5db3d7, v22
	v_fmac_f32_e32 v27, 0xbf5db3d7, v20
	;; [unrolled: 1-line block ×3, first 2 shown]
	v_mul_f32_e32 v8, -0.5, v30
	v_add_f32_e32 v16, v43, v16
	v_add_f32_e32 v18, v26, v24
	;; [unrolled: 1-line block ×3, first 2 shown]
	v_fmac_f32_e32 v1, 0x3f5db3d7, v20
	v_fmac_f32_e32 v8, 0xbf5db3d7, v29
	ds_write2_b64 v15, v[16:17], v[18:19] offset0:96 offset1:204
	v_add_f32_e32 v17, v1, v8
	v_sub_f32_e32 v1, v1, v8
	v_mul_f32_e32 v8, -0.5, v29
	v_fmac_f32_e32 v0, 0xbf5db3d7, v22
	v_fmac_f32_e32 v8, 0x3f5db3d7, v30
	v_sub_f32_e32 v2, v2, v39
	v_sub_f32_e32 v3, v3, v42
	v_add_f32_e32 v16, v0, v8
	v_sub_f32_e32 v15, v56, v40
	v_sub_f32_e32 v18, v69, v78
	;; [unrolled: 1-line block ×11, first 2 shown]
	ds_write2_b64 v12, v[16:17], v[2:3] offset0:104 offset1:212
	ds_write2_b64 v13, v[20:21], v[22:23] offset0:24 offset1:132
	;; [unrolled: 1-line block ×4, first 2 shown]
	s_waitcnt lgkmcnt(0)
	s_barrier
	s_and_saveexec_b64 s[4:5], s[0:1]
	s_cbranch_execz .LBB0_19
; %bb.18:
	v_lshl_add_u32 v10, v4, 3, 0
	v_mov_b32_e32 v5, v9
	ds_read2_b64 v[0:3], v10 offset1:108
	v_mov_b32_e32 v8, s3
	v_add_co_u32_e32 v11, vcc, s2, v6
	v_lshlrev_b64 v[5:6], 3, v[4:5]
	v_addc_co_u32_e32 v7, vcc, v8, v7, vcc
	v_add_co_u32_e32 v5, vcc, v11, v5
	v_addc_co_u32_e32 v6, vcc, v7, v6, vcc
	v_add_u32_e32 v8, 0x6c, v4
	s_waitcnt lgkmcnt(0)
	global_store_dwordx2 v[5:6], v[0:1], off
	v_lshlrev_b64 v[0:1], 3, v[8:9]
	v_add_u32_e32 v8, 0xd8, v4
	v_add_co_u32_e32 v0, vcc, v11, v0
	v_addc_co_u32_e32 v1, vcc, v7, v1, vcc
	global_store_dwordx2 v[0:1], v[2:3], off
	v_add_u32_e32 v0, 0x400, v10
	ds_read2_b64 v[0:3], v0 offset0:88 offset1:196
	v_lshlrev_b64 v[5:6], 3, v[8:9]
	v_add_u32_e32 v8, 0x144, v4
	v_add_co_u32_e32 v5, vcc, v11, v5
	v_addc_co_u32_e32 v6, vcc, v7, v6, vcc
	s_waitcnt lgkmcnt(0)
	global_store_dwordx2 v[5:6], v[0:1], off
	v_lshlrev_b64 v[0:1], 3, v[8:9]
	v_add_u32_e32 v8, 0x1b0, v4
	v_add_co_u32_e32 v0, vcc, v11, v0
	v_addc_co_u32_e32 v1, vcc, v7, v1, vcc
	global_store_dwordx2 v[0:1], v[2:3], off
	v_add_u32_e32 v0, 0xc00, v10
	ds_read2_b64 v[0:3], v0 offset0:48 offset1:156
	v_lshlrev_b64 v[5:6], 3, v[8:9]
	v_add_u32_e32 v8, 0x21c, v4
	v_add_co_u32_e32 v5, vcc, v11, v5
	v_addc_co_u32_e32 v6, vcc, v7, v6, vcc
	;; [unrolled: 13-line block ×14, first 2 shown]
	s_waitcnt lgkmcnt(0)
	global_store_dwordx2 v[5:6], v[0:1], off
	v_lshlrev_b64 v[0:1], 3, v[8:9]
	v_add_co_u32_e32 v0, vcc, v11, v0
	v_addc_co_u32_e32 v1, vcc, v7, v1, vcc
	global_store_dwordx2 v[0:1], v[2:3], off
.LBB0_19:
	s_endpgm
	.section	.rodata,"a",@progbits
	.p2align	6, 0x0
	.amdhsa_kernel fft_rtc_fwd_len3240_factors_3_3_10_6_6_wgs_108_tpt_108_halfLds_sp_ip_CI_unitstride_sbrr_C2R_dirReg
		.amdhsa_group_segment_fixed_size 0
		.amdhsa_private_segment_fixed_size 0
		.amdhsa_kernarg_size 88
		.amdhsa_user_sgpr_count 6
		.amdhsa_user_sgpr_private_segment_buffer 1
		.amdhsa_user_sgpr_dispatch_ptr 0
		.amdhsa_user_sgpr_queue_ptr 0
		.amdhsa_user_sgpr_kernarg_segment_ptr 1
		.amdhsa_user_sgpr_dispatch_id 0
		.amdhsa_user_sgpr_flat_scratch_init 0
		.amdhsa_user_sgpr_private_segment_size 0
		.amdhsa_uses_dynamic_stack 0
		.amdhsa_system_sgpr_private_segment_wavefront_offset 0
		.amdhsa_system_sgpr_workgroup_id_x 1
		.amdhsa_system_sgpr_workgroup_id_y 0
		.amdhsa_system_sgpr_workgroup_id_z 0
		.amdhsa_system_sgpr_workgroup_info 0
		.amdhsa_system_vgpr_workitem_id 0
		.amdhsa_next_free_vgpr 116
		.amdhsa_next_free_sgpr 22
		.amdhsa_reserve_vcc 1
		.amdhsa_reserve_flat_scratch 0
		.amdhsa_float_round_mode_32 0
		.amdhsa_float_round_mode_16_64 0
		.amdhsa_float_denorm_mode_32 3
		.amdhsa_float_denorm_mode_16_64 3
		.amdhsa_dx10_clamp 1
		.amdhsa_ieee_mode 1
		.amdhsa_fp16_overflow 0
		.amdhsa_exception_fp_ieee_invalid_op 0
		.amdhsa_exception_fp_denorm_src 0
		.amdhsa_exception_fp_ieee_div_zero 0
		.amdhsa_exception_fp_ieee_overflow 0
		.amdhsa_exception_fp_ieee_underflow 0
		.amdhsa_exception_fp_ieee_inexact 0
		.amdhsa_exception_int_div_zero 0
	.end_amdhsa_kernel
	.text
.Lfunc_end0:
	.size	fft_rtc_fwd_len3240_factors_3_3_10_6_6_wgs_108_tpt_108_halfLds_sp_ip_CI_unitstride_sbrr_C2R_dirReg, .Lfunc_end0-fft_rtc_fwd_len3240_factors_3_3_10_6_6_wgs_108_tpt_108_halfLds_sp_ip_CI_unitstride_sbrr_C2R_dirReg
                                        ; -- End function
	.section	.AMDGPU.csdata,"",@progbits
; Kernel info:
; codeLenInByte = 17812
; NumSgprs: 26
; NumVgprs: 116
; ScratchSize: 0
; MemoryBound: 0
; FloatMode: 240
; IeeeMode: 1
; LDSByteSize: 0 bytes/workgroup (compile time only)
; SGPRBlocks: 3
; VGPRBlocks: 28
; NumSGPRsForWavesPerEU: 26
; NumVGPRsForWavesPerEU: 116
; Occupancy: 2
; WaveLimiterHint : 1
; COMPUTE_PGM_RSRC2:SCRATCH_EN: 0
; COMPUTE_PGM_RSRC2:USER_SGPR: 6
; COMPUTE_PGM_RSRC2:TRAP_HANDLER: 0
; COMPUTE_PGM_RSRC2:TGID_X_EN: 1
; COMPUTE_PGM_RSRC2:TGID_Y_EN: 0
; COMPUTE_PGM_RSRC2:TGID_Z_EN: 0
; COMPUTE_PGM_RSRC2:TIDIG_COMP_CNT: 0
	.type	__hip_cuid_a94f2ec24f5e8da,@object ; @__hip_cuid_a94f2ec24f5e8da
	.section	.bss,"aw",@nobits
	.globl	__hip_cuid_a94f2ec24f5e8da
__hip_cuid_a94f2ec24f5e8da:
	.byte	0                               ; 0x0
	.size	__hip_cuid_a94f2ec24f5e8da, 1

	.ident	"AMD clang version 19.0.0git (https://github.com/RadeonOpenCompute/llvm-project roc-6.4.0 25133 c7fe45cf4b819c5991fe208aaa96edf142730f1d)"
	.section	".note.GNU-stack","",@progbits
	.addrsig
	.addrsig_sym __hip_cuid_a94f2ec24f5e8da
	.amdgpu_metadata
---
amdhsa.kernels:
  - .args:
      - .actual_access:  read_only
        .address_space:  global
        .offset:         0
        .size:           8
        .value_kind:     global_buffer
      - .offset:         8
        .size:           8
        .value_kind:     by_value
      - .actual_access:  read_only
        .address_space:  global
        .offset:         16
        .size:           8
        .value_kind:     global_buffer
      - .actual_access:  read_only
        .address_space:  global
        .offset:         24
        .size:           8
        .value_kind:     global_buffer
      - .offset:         32
        .size:           8
        .value_kind:     by_value
      - .actual_access:  read_only
        .address_space:  global
        .offset:         40
        .size:           8
        .value_kind:     global_buffer
      - .actual_access:  read_only
        .address_space:  global
        .offset:         48
        .size:           8
        .value_kind:     global_buffer
      - .offset:         56
        .size:           4
        .value_kind:     by_value
      - .actual_access:  read_only
        .address_space:  global
        .offset:         64
        .size:           8
        .value_kind:     global_buffer
      - .actual_access:  read_only
        .address_space:  global
        .offset:         72
        .size:           8
        .value_kind:     global_buffer
      - .address_space:  global
        .offset:         80
        .size:           8
        .value_kind:     global_buffer
    .group_segment_fixed_size: 0
    .kernarg_segment_align: 8
    .kernarg_segment_size: 88
    .language:       OpenCL C
    .language_version:
      - 2
      - 0
    .max_flat_workgroup_size: 108
    .name:           fft_rtc_fwd_len3240_factors_3_3_10_6_6_wgs_108_tpt_108_halfLds_sp_ip_CI_unitstride_sbrr_C2R_dirReg
    .private_segment_fixed_size: 0
    .sgpr_count:     26
    .sgpr_spill_count: 0
    .symbol:         fft_rtc_fwd_len3240_factors_3_3_10_6_6_wgs_108_tpt_108_halfLds_sp_ip_CI_unitstride_sbrr_C2R_dirReg.kd
    .uniform_work_group_size: 1
    .uses_dynamic_stack: false
    .vgpr_count:     116
    .vgpr_spill_count: 0
    .wavefront_size: 64
amdhsa.target:   amdgcn-amd-amdhsa--gfx906
amdhsa.version:
  - 1
  - 2
...

	.end_amdgpu_metadata
